;; amdgpu-corpus repo=ROCm/rocFFT kind=compiled arch=gfx906 opt=O3
	.text
	.amdgcn_target "amdgcn-amd-amdhsa--gfx906"
	.amdhsa_code_object_version 6
	.protected	bluestein_single_fwd_len1320_dim1_dp_op_CI_CI ; -- Begin function bluestein_single_fwd_len1320_dim1_dp_op_CI_CI
	.globl	bluestein_single_fwd_len1320_dim1_dp_op_CI_CI
	.p2align	8
	.type	bluestein_single_fwd_len1320_dim1_dp_op_CI_CI,@function
bluestein_single_fwd_len1320_dim1_dp_op_CI_CI: ; @bluestein_single_fwd_len1320_dim1_dp_op_CI_CI
; %bb.0:
	s_mov_b64 s[46:47], s[2:3]
	s_mov_b64 s[44:45], s[0:1]
	s_load_dwordx4 s[0:3], s[4:5], 0x28
	v_mul_u32_u24_e32 v1, 0x18e, v0
	v_add_u32_sdwa v229, s6, v1 dst_sel:DWORD dst_unused:UNUSED_PAD src0_sel:DWORD src1_sel:WORD_1
	v_mov_b32_e32 v230, 0
	s_add_u32 s44, s44, s7
	s_waitcnt lgkmcnt(0)
	v_cmp_gt_u64_e32 vcc, s[0:1], v[229:230]
	s_addc_u32 s45, s45, 0
	s_and_saveexec_b64 s[0:1], vcc
	s_cbranch_execz .LBB0_31
; %bb.1:
	s_load_dwordx2 s[12:13], s[4:5], 0x0
	s_load_dwordx2 s[6:7], s[4:5], 0x38
	s_movk_i32 s0, 0xa5
	v_mul_lo_u16_sdwa v1, v1, s0 dst_sel:DWORD dst_unused:UNUSED_PAD src0_sel:WORD_1 src1_sel:DWORD
	v_sub_u16_e32 v230, v0, v1
	s_movk_i32 s0, 0x78
	v_cmp_gt_u16_e64 s[0:1], s0, v230
	v_lshlrev_b32_e32 v148, 4, v230
	s_and_saveexec_b64 s[14:15], s[0:1]
	s_cbranch_execz .LBB0_3
; %bb.2:
	s_load_dwordx2 s[8:9], s[4:5], 0x18
	s_waitcnt lgkmcnt(0)
	v_mov_b32_e32 v20, s13
	s_load_dwordx4 s[8:11], s[8:9], 0x0
	s_waitcnt lgkmcnt(0)
	v_mad_u64_u32 v[0:1], s[16:17], s10, v229, 0
	v_mad_u64_u32 v[2:3], s[16:17], s8, v230, 0
	v_mad_u64_u32 v[4:5], s[10:11], s11, v229, v[1:2]
	v_mad_u64_u32 v[5:6], s[10:11], s9, v230, v[3:4]
	v_mov_b32_e32 v1, v4
	v_lshlrev_b64 v[0:1], 4, v[0:1]
	v_mov_b32_e32 v3, v5
	v_mov_b32_e32 v6, s3
	v_lshlrev_b64 v[2:3], 4, v[2:3]
	v_add_co_u32_e32 v0, vcc, s2, v0
	v_addc_co_u32_e32 v1, vcc, v6, v1, vcc
	v_add_co_u32_e32 v16, vcc, v0, v2
	s_mul_i32 s2, s9, 0x780
	s_mul_hi_u32 s3, s8, 0x780
	v_addc_co_u32_e32 v17, vcc, v1, v3, vcc
	s_add_i32 s2, s3, s2
	s_mul_i32 s3, s8, 0x780
	v_mov_b32_e32 v0, s2
	v_add_co_u32_e32 v18, vcc, s3, v16
	v_addc_co_u32_e32 v19, vcc, v17, v0, vcc
	global_load_dwordx4 v[0:3], v[16:17], off
	global_load_dwordx4 v[4:7], v[18:19], off
	global_load_dwordx4 v[8:11], v148, s[12:13]
	global_load_dwordx4 v[12:15], v148, s[12:13] offset:1920
	v_mov_b32_e32 v16, s2
	v_add_co_u32_e32 v44, vcc, s3, v18
	v_addc_co_u32_e32 v45, vcc, v19, v16, vcc
	v_add_co_u32_e32 v78, vcc, s12, v148
	s_movk_i32 s8, 0x1000
	v_addc_co_u32_e32 v79, vcc, 0, v20, vcc
	v_add_co_u32_e32 v36, vcc, s8, v78
	s_movk_i32 s9, 0x2000
	;; [unrolled: 3-line block ×3, first 2 shown]
	v_addc_co_u32_e32 v39, vcc, 0, v79, vcc
	v_add_co_u32_e32 v72, vcc, s10, v78
	v_addc_co_u32_e32 v73, vcc, 0, v79, vcc
	global_load_dwordx4 v[16:19], v148, s[12:13] offset:3840
	global_load_dwordx4 v[20:23], v[36:37], off offset:1664
	global_load_dwordx4 v[24:27], v[36:37], off offset:3584
	global_load_dwordx4 v[28:31], v[38:39], off offset:1408
	global_load_dwordx4 v[32:35], v[38:39], off offset:3328
	v_mov_b32_e32 v36, s2
	v_add_co_u32_e32 v46, vcc, s3, v44
	v_addc_co_u32_e32 v47, vcc, v45, v36, vcc
	global_load_dwordx4 v[36:39], v[44:45], off
	global_load_dwordx4 v[40:43], v[46:47], off
	v_mov_b32_e32 v49, s2
	v_add_co_u32_e32 v48, vcc, s3, v46
	v_addc_co_u32_e32 v49, vcc, v47, v49, vcc
	v_mov_b32_e32 v50, s2
	v_add_co_u32_e32 v52, vcc, s3, v48
	v_addc_co_u32_e32 v53, vcc, v49, v50, vcc
	;; [unrolled: 3-line block ×3, first 2 shown]
	global_load_dwordx4 v[44:47], v[48:49], off
	v_mov_b32_e32 v58, s2
	global_load_dwordx4 v[48:51], v[52:53], off
	v_add_co_u32_e32 v60, vcc, s3, v56
	global_load_dwordx4 v[52:55], v[56:57], off
	v_addc_co_u32_e32 v61, vcc, v57, v58, vcc
	v_mov_b32_e32 v62, s2
	v_add_co_u32_e32 v74, vcc, s3, v60
	v_addc_co_u32_e32 v75, vcc, v61, v62, vcc
	global_load_dwordx4 v[56:59], v[60:61], off
	s_nop 0
	global_load_dwordx4 v[60:63], v[74:75], off
	global_load_dwordx4 v[64:67], v[72:73], off offset:1152
	global_load_dwordx4 v[68:71], v[72:73], off offset:3072
	v_mov_b32_e32 v72, s2
	v_add_co_u32_e32 v76, vcc, s3, v74
	v_addc_co_u32_e32 v77, vcc, v75, v72, vcc
	s_movk_i32 s8, 0x4000
	v_add_co_u32_e32 v88, vcc, s8, v78
	v_addc_co_u32_e32 v89, vcc, 0, v79, vcc
	global_load_dwordx4 v[72:75], v[76:77], off
	v_mov_b32_e32 v78, s2
	v_add_co_u32_e32 v90, vcc, s3, v76
	v_addc_co_u32_e32 v91, vcc, v77, v78, vcc
	global_load_dwordx4 v[76:79], v[88:89], off offset:896
	global_load_dwordx4 v[80:83], v[90:91], off
	global_load_dwordx4 v[84:87], v[88:89], off offset:2816
	s_waitcnt vmcnt(19)
	v_mul_f64 v[88:89], v[2:3], v[10:11]
	v_mul_f64 v[10:11], v[0:1], v[10:11]
	s_waitcnt vmcnt(18)
	v_mul_f64 v[90:91], v[6:7], v[14:15]
	v_mul_f64 v[14:15], v[4:5], v[14:15]
	v_fma_f64 v[0:1], v[0:1], v[8:9], v[88:89]
	v_fma_f64 v[2:3], v[2:3], v[8:9], -v[10:11]
	v_fma_f64 v[4:5], v[4:5], v[12:13], v[90:91]
	v_fma_f64 v[6:7], v[6:7], v[12:13], -v[14:15]
	ds_write_b128 v148, v[0:3]
	ds_write_b128 v148, v[4:7] offset:1920
	s_waitcnt vmcnt(12)
	v_mul_f64 v[92:93], v[38:39], v[18:19]
	v_mul_f64 v[18:19], v[36:37], v[18:19]
	s_waitcnt vmcnt(11)
	v_mul_f64 v[12:13], v[42:43], v[22:23]
	v_mul_f64 v[2:3], v[40:41], v[22:23]
	v_fma_f64 v[8:9], v[36:37], v[16:17], v[92:93]
	v_fma_f64 v[10:11], v[38:39], v[16:17], -v[18:19]
	v_fma_f64 v[0:1], v[40:41], v[20:21], v[12:13]
	v_fma_f64 v[2:3], v[42:43], v[20:21], -v[2:3]
	s_waitcnt vmcnt(10)
	v_mul_f64 v[4:5], v[46:47], v[26:27]
	v_mul_f64 v[6:7], v[44:45], v[26:27]
	s_waitcnt vmcnt(9)
	v_mul_f64 v[12:13], v[50:51], v[30:31]
	v_mul_f64 v[14:15], v[48:49], v[30:31]
	ds_write_b128 v148, v[8:11] offset:3840
	s_waitcnt vmcnt(8)
	v_mul_f64 v[16:17], v[54:55], v[34:35]
	v_mul_f64 v[18:19], v[52:53], v[34:35]
	v_fma_f64 v[4:5], v[44:45], v[24:25], v[4:5]
	v_fma_f64 v[6:7], v[46:47], v[24:25], -v[6:7]
	v_fma_f64 v[8:9], v[48:49], v[28:29], v[12:13]
	v_fma_f64 v[10:11], v[50:51], v[28:29], -v[14:15]
	;; [unrolled: 2-line block ×3, first 2 shown]
	s_waitcnt vmcnt(5)
	v_mul_f64 v[16:17], v[58:59], v[66:67]
	v_mul_f64 v[18:19], v[56:57], v[66:67]
	s_waitcnt vmcnt(4)
	v_mul_f64 v[20:21], v[62:63], v[70:71]
	v_mul_f64 v[22:23], v[60:61], v[70:71]
	v_fma_f64 v[16:17], v[56:57], v[64:65], v[16:17]
	v_fma_f64 v[18:19], v[58:59], v[64:65], -v[18:19]
	v_fma_f64 v[20:21], v[60:61], v[68:69], v[20:21]
	v_fma_f64 v[22:23], v[62:63], v[68:69], -v[22:23]
	s_waitcnt vmcnt(2)
	v_mul_f64 v[24:25], v[74:75], v[78:79]
	v_mul_f64 v[26:27], v[72:73], v[78:79]
	s_waitcnt vmcnt(0)
	v_mul_f64 v[28:29], v[82:83], v[86:87]
	v_mul_f64 v[30:31], v[80:81], v[86:87]
	v_fma_f64 v[24:25], v[72:73], v[76:77], v[24:25]
	v_fma_f64 v[26:27], v[74:75], v[76:77], -v[26:27]
	v_fma_f64 v[28:29], v[80:81], v[84:85], v[28:29]
	v_fma_f64 v[30:31], v[82:83], v[84:85], -v[30:31]
	ds_write_b128 v148, v[0:3] offset:5760
	ds_write_b128 v148, v[4:7] offset:7680
	;; [unrolled: 1-line block ×8, first 2 shown]
.LBB0_3:
	s_or_b64 exec, exec, s[14:15]
	s_load_dwordx2 s[2:3], s[4:5], 0x20
	s_load_dwordx2 s[14:15], s[4:5], 0x8
	s_waitcnt lgkmcnt(0)
	s_barrier
	s_waitcnt lgkmcnt(0)
                                        ; implicit-def: $vgpr4_vgpr5
                                        ; implicit-def: $vgpr8_vgpr9
                                        ; implicit-def: $vgpr12_vgpr13
                                        ; implicit-def: $vgpr28_vgpr29
                                        ; implicit-def: $vgpr40_vgpr41
                                        ; implicit-def: $vgpr44_vgpr45
                                        ; implicit-def: $vgpr48_vgpr49
                                        ; implicit-def: $vgpr36_vgpr37
                                        ; implicit-def: $vgpr32_vgpr33
                                        ; implicit-def: $vgpr24_vgpr25
                                        ; implicit-def: $vgpr16_vgpr17
	s_and_saveexec_b64 s[4:5], s[0:1]
	s_cbranch_execz .LBB0_5
; %bb.4:
	ds_read_b128 v[4:7], v148
	ds_read_b128 v[16:19], v148 offset:1920
	ds_read_b128 v[24:27], v148 offset:3840
	;; [unrolled: 1-line block ×10, first 2 shown]
.LBB0_5:
	s_or_b64 exec, exec, s[4:5]
	s_waitcnt lgkmcnt(0)
	v_add_f64 v[72:73], v[18:19], -v[50:51]
	v_add_f64 v[70:71], v[16:17], -v[48:49]
	s_mov_b32 s4, 0xf8bb580b
	s_mov_b32 s5, 0xbfe14ced
	v_add_f64 v[68:69], v[48:49], v[16:17]
	v_add_f64 v[84:85], v[50:51], v[18:19]
	v_add_f64 v[90:91], v[26:27], -v[46:47]
	v_add_f64 v[88:89], v[24:25], -v[44:45]
	v_mul_f64 v[52:53], v[72:73], s[4:5]
	v_mul_f64 v[58:59], v[70:71], s[4:5]
	s_mov_b32 s10, 0x8764f0ba
	s_mov_b32 s16, 0x8eee2c13
	;; [unrolled: 1-line block ×4, first 2 shown]
	v_add_f64 v[74:75], v[44:45], v[24:25]
	v_mul_f64 v[54:55], v[90:91], s[16:17]
	v_fma_f64 v[0:1], v[68:69], s[10:11], v[52:53]
	v_add_f64 v[96:97], v[46:47], v[26:27]
	v_mul_f64 v[56:57], v[88:89], s[16:17]
	v_fma_f64 v[2:3], v[84:85], s[10:11], -v[58:59]
	v_add_f64 v[104:105], v[10:11], -v[42:43]
	v_add_f64 v[108:109], v[8:9], -v[40:41]
	s_mov_b32 s8, 0xd9c712b6
	s_mov_b32 s20, 0x43842ef
	s_mov_b32 s9, 0x3fda9628
	s_mov_b32 s21, 0xbfefac9e
	v_fma_f64 v[20:21], v[74:75], s[8:9], v[54:55]
	v_add_f64 v[0:1], v[4:5], v[0:1]
	v_fma_f64 v[22:23], v[96:97], s[8:9], -v[56:57]
	v_add_f64 v[2:3], v[6:7], v[2:3]
	v_add_f64 v[98:99], v[8:9], v[40:41]
	v_mul_f64 v[60:61], v[104:105], s[20:21]
	v_add_f64 v[114:115], v[10:11], v[42:43]
	v_mul_f64 v[62:63], v[108:109], s[20:21]
	v_add_f64 v[116:117], v[14:15], -v[30:31]
	v_add_f64 v[120:121], v[12:13], -v[28:29]
	s_mov_b32 s22, 0x640f44db
	s_mov_b32 s26, 0xbb3a28a1
	;; [unrolled: 1-line block ×4, first 2 shown]
	v_add_f64 v[0:1], v[20:21], v[0:1]
	v_add_f64 v[2:3], v[22:23], v[2:3]
	v_fma_f64 v[20:21], v[98:99], s[22:23], v[60:61]
	v_fma_f64 v[22:23], v[114:115], s[22:23], -v[62:63]
	v_add_f64 v[110:111], v[12:13], v[28:29]
	v_mul_f64 v[64:65], v[116:117], s[26:27]
	v_add_f64 v[149:150], v[14:15], v[30:31]
	v_mul_f64 v[66:67], v[120:121], s[26:27]
	v_mul_f64 v[86:87], v[72:73], s[16:17]
	;; [unrolled: 1-line block ×5, first 2 shown]
	s_mov_b32 s24, 0x7f775887
	s_mov_b32 s34, 0xfd768dbf
	;; [unrolled: 1-line block ×4, first 2 shown]
	v_add_f64 v[0:1], v[20:21], v[0:1]
	v_add_f64 v[2:3], v[22:23], v[2:3]
	v_fma_f64 v[20:21], v[110:111], s[24:25], v[64:65]
	v_fma_f64 v[22:23], v[149:150], s[24:25], -v[66:67]
	v_fma_f64 v[76:77], v[68:69], s[8:9], v[86:87]
	v_mul_f64 v[92:93], v[90:91], s[26:27]
	v_fma_f64 v[78:79], v[84:85], s[8:9], -v[128:129]
	v_mul_f64 v[100:101], v[88:89], s[26:27]
	v_fma_f64 v[112:113], v[68:69], s[22:23], v[118:119]
	v_mul_f64 v[124:125], v[90:91], s[34:35]
	v_fma_f64 v[126:127], v[84:85], s[22:23], -v[151:152]
	v_mul_f64 v[153:154], v[88:89], s[34:35]
	s_mov_b32 s28, 0x9bcd5057
	s_mov_b32 s29, 0xbfeeb42a
	s_mov_b32 s37, 0x3fed1bb4
	s_mov_b32 s36, s16
	v_add_f64 v[0:1], v[20:21], v[0:1]
	v_add_f64 v[2:3], v[22:23], v[2:3]
	;; [unrolled: 1-line block ×3, first 2 shown]
	v_fma_f64 v[22:23], v[74:75], s[24:25], v[92:93]
	v_add_f64 v[76:77], v[6:7], v[78:79]
	v_fma_f64 v[78:79], v[96:97], s[24:25], -v[100:101]
	v_mul_f64 v[94:95], v[104:105], s[34:35]
	v_mul_f64 v[102:103], v[108:109], s[34:35]
	v_add_f64 v[112:113], v[4:5], v[112:113]
	v_fma_f64 v[130:131], v[74:75], s[28:29], v[124:125]
	v_add_f64 v[132:133], v[6:7], v[126:127]
	v_fma_f64 v[138:139], v[96:97], s[28:29], -v[153:154]
	v_mul_f64 v[126:127], v[104:105], s[36:37]
	v_mul_f64 v[134:135], v[108:109], s[36:37]
	s_mov_b32 s39, 0x3fefac9e
	s_mov_b32 s38, s20
	v_add_f64 v[136:137], v[34:35], -v[38:39]
	v_add_f64 v[140:141], v[32:33], -v[36:37]
	v_add_f64 v[20:21], v[22:23], v[20:21]
	v_add_f64 v[22:23], v[78:79], v[76:77]
	v_fma_f64 v[76:77], v[98:99], s[28:29], v[94:95]
	v_fma_f64 v[78:79], v[114:115], s[28:29], -v[102:103]
	v_mul_f64 v[106:107], v[116:117], s[38:39]
	v_mul_f64 v[122:123], v[120:121], s[38:39]
	v_add_f64 v[146:147], v[130:131], v[112:113]
	v_add_f64 v[138:139], v[138:139], v[132:133]
	v_fma_f64 v[161:162], v[98:99], s[8:9], v[126:127]
	v_fma_f64 v[163:164], v[114:115], s[8:9], -v[134:135]
	v_mul_f64 v[130:131], v[116:117], s[4:5]
	v_mul_f64 v[142:143], v[120:121], s[4:5]
	s_mov_b32 s31, 0xbfd207e7
	s_mov_b32 s30, s34
	;; [unrolled: 1-line block ×4, first 2 shown]
	v_add_f64 v[144:145], v[36:37], v[32:33]
	v_mul_f64 v[80:81], v[136:137], s[30:31]
	v_add_f64 v[155:156], v[38:39], v[34:35]
	v_mul_f64 v[82:83], v[140:141], s[30:31]
	v_add_f64 v[20:21], v[76:77], v[20:21]
	v_add_f64 v[22:23], v[78:79], v[22:23]
	v_fma_f64 v[76:77], v[110:111], s[22:23], v[106:107]
	v_fma_f64 v[78:79], v[149:150], s[22:23], -v[122:123]
	v_mul_f64 v[112:113], v[136:137], s[40:41]
	v_mul_f64 v[132:133], v[140:141], s[40:41]
	v_add_f64 v[161:162], v[161:162], v[146:147]
	v_add_f64 v[163:164], v[163:164], v[138:139]
	v_fma_f64 v[165:166], v[110:111], s[10:11], v[130:131]
	v_fma_f64 v[167:168], v[149:150], s[10:11], -v[142:143]
	v_mul_f64 v[138:139], v[136:137], s[26:27]
	v_mul_f64 v[146:147], v[140:141], s[26:27]
	v_fma_f64 v[157:158], v[144:145], s[28:29], v[80:81]
	v_fma_f64 v[159:160], v[155:156], s[28:29], -v[82:83]
	v_add_f64 v[20:21], v[76:77], v[20:21]
	v_add_f64 v[22:23], v[78:79], v[22:23]
	v_fma_f64 v[76:77], v[144:145], s[10:11], v[112:113]
	v_fma_f64 v[78:79], v[155:156], s[10:11], -v[132:133]
	v_add_f64 v[161:162], v[165:166], v[161:162]
	v_add_f64 v[163:164], v[167:168], v[163:164]
	v_fma_f64 v[165:166], v[144:145], s[24:25], v[138:139]
	v_fma_f64 v[167:168], v[155:156], s[24:25], -v[146:147]
	v_add_f64 v[252:253], v[157:158], v[0:1]
	v_add_f64 v[254:255], v[159:160], v[2:3]
	v_add_f64 v[76:77], v[76:77], v[20:21]
	v_add_f64 v[78:79], v[78:79], v[22:23]
	v_mul_lo_u16_e32 v232, 11, v230
	v_add_f64 v[20:21], v[165:166], v[161:162]
	v_add_f64 v[22:23], v[167:168], v[163:164]
	s_barrier
	s_and_saveexec_b64 s[18:19], s[0:1]
	s_cbranch_execz .LBB0_7
; %bb.6:
	v_mul_f64 v[159:160], v[84:85], s[28:29]
	v_mul_f64 v[163:164], v[72:73], s[30:31]
	;; [unrolled: 1-line block ×6, first 2 shown]
	s_mov_b32 s43, 0x3fe82f19
	s_mov_b32 s42, s26
	v_fma_f64 v[233:234], v[70:71], s[34:35], v[159:160]
	v_fma_f64 v[237:238], v[68:69], s[28:29], v[163:164]
	;; [unrolled: 1-line block ×3, first 2 shown]
	v_fma_f64 v[163:164], v[68:69], s[28:29], -v[163:164]
	v_fma_f64 v[241:242], v[88:89], s[4:5], v[227:228]
	v_fma_f64 v[245:246], v[74:75], s[10:11], v[235:236]
	;; [unrolled: 1-line block ×3, first 2 shown]
	v_fma_f64 v[235:236], v[74:75], s[10:11], -v[235:236]
	v_add_f64 v[233:234], v[6:7], v[233:234]
	v_add_f64 v[237:238], v[4:5], v[237:238]
	;; [unrolled: 1-line block ×4, first 2 shown]
	v_mul_f64 v[157:158], v[149:150], s[8:9]
	v_fma_f64 v[239:240], v[108:109], s[42:43], v[223:224]
	v_fma_f64 v[247:248], v[98:99], s[24:25], v[243:244]
	;; [unrolled: 1-line block ×3, first 2 shown]
	v_add_f64 v[233:234], v[241:242], v[233:234]
	v_mul_f64 v[241:242], v[116:117], s[36:37]
	v_add_f64 v[237:238], v[245:246], v[237:238]
	v_add_f64 v[159:160], v[227:228], v[159:160]
	v_fma_f64 v[227:228], v[98:99], s[24:25], -v[243:244]
	v_add_f64 v[163:164], v[235:236], v[163:164]
	v_mul_f64 v[161:162], v[155:156], s[22:23]
	v_fma_f64 v[225:226], v[120:121], s[16:17], v[157:158]
	v_add_f64 v[233:234], v[239:240], v[233:234]
	v_mul_f64 v[235:236], v[136:137], s[20:21]
	v_fma_f64 v[239:240], v[110:111], s[8:9], v[241:242]
	v_add_f64 v[237:238], v[247:248], v[237:238]
	v_fma_f64 v[157:158], v[120:121], s[36:37], v[157:158]
	v_add_f64 v[159:160], v[223:224], v[159:160]
	v_fma_f64 v[223:224], v[110:111], s[8:9], -v[241:242]
	v_add_f64 v[163:164], v[227:228], v[163:164]
	v_mul_f64 v[167:168], v[84:85], s[10:11]
	v_mul_f64 v[171:172], v[84:85], s[8:9]
	;; [unrolled: 1-line block ×3, first 2 shown]
	v_fma_f64 v[227:228], v[140:141], s[38:39], v[161:162]
	v_add_f64 v[225:226], v[225:226], v[233:234]
	v_fma_f64 v[233:234], v[144:145], s[22:23], v[235:236]
	v_add_f64 v[237:238], v[239:240], v[237:238]
	;; [unrolled: 2-line block ×3, first 2 shown]
	v_fma_f64 v[235:236], v[144:145], s[22:23], -v[235:236]
	v_add_f64 v[223:224], v[223:224], v[163:164]
	v_mul_f64 v[84:85], v[84:85], s[24:25]
	v_mul_f64 v[179:180], v[96:97], s[8:9]
	v_mul_f64 v[183:184], v[96:97], s[24:25]
	v_mul_f64 v[187:188], v[96:97], s[28:29]
	v_mul_f64 v[72:73], v[72:73], s[26:27]
	v_add_f64 v[163:164], v[161:162], v[239:240]
	v_mul_f64 v[96:97], v[96:97], s[22:23]
	v_add_f64 v[161:162], v[235:236], v[223:224]
	v_fma_f64 v[223:224], v[70:71], s[26:27], v[84:85]
	v_mul_f64 v[191:192], v[114:115], s[22:23]
	v_mul_f64 v[195:196], v[114:115], s[28:29]
	;; [unrolled: 1-line block ×3, first 2 shown]
	v_add_f64 v[159:160], v[227:228], v[225:226]
	v_mul_f64 v[90:91], v[90:91], s[38:39]
	v_fma_f64 v[225:226], v[68:69], s[24:25], v[72:73]
	v_mul_f64 v[114:115], v[114:115], s[10:11]
	v_fma_f64 v[227:228], v[88:89], s[20:21], v[96:97]
	v_fma_f64 v[88:89], v[88:89], s[38:39], v[96:97]
	v_add_f64 v[96:97], v[6:7], v[223:224]
	v_mul_f64 v[165:166], v[68:69], s[10:11]
	v_mul_f64 v[169:170], v[68:69], s[8:9]
	;; [unrolled: 1-line block ×6, first 2 shown]
	v_add_f64 v[157:158], v[233:234], v[237:238]
	v_mul_f64 v[149:150], v[149:150], s[28:29]
	v_mul_f64 v[104:105], v[104:105], s[4:5]
	v_fma_f64 v[223:224], v[74:75], s[22:23], v[90:91]
	v_add_f64 v[225:226], v[4:5], v[225:226]
	v_fma_f64 v[233:234], v[108:109], s[40:41], v[114:115]
	v_fma_f64 v[108:109], v[108:109], s[4:5], v[114:115]
	v_fma_f64 v[68:69], v[68:69], s[24:25], -v[72:73]
	v_add_f64 v[72:73], v[88:89], v[96:97]
	v_mul_f64 v[177:178], v[74:75], s[8:9]
	v_mul_f64 v[181:182], v[74:75], s[24:25]
	;; [unrolled: 1-line block ×8, first 2 shown]
	v_fma_f64 v[96:97], v[98:99], s[10:11], v[104:105]
	v_add_f64 v[114:115], v[223:224], v[225:226]
	v_fma_f64 v[116:117], v[120:121], s[30:31], v[149:150]
	v_fma_f64 v[74:75], v[74:75], s[22:23], -v[90:91]
	v_add_f64 v[68:69], v[4:5], v[68:69]
	v_add_f64 v[72:73], v[108:109], v[72:73]
	;; [unrolled: 1-line block ×4, first 2 shown]
	v_mul_f64 v[189:190], v[98:99], s[22:23]
	v_mul_f64 v[193:194], v[98:99], s[28:29]
	;; [unrolled: 1-line block ×3, first 2 shown]
	v_fma_f64 v[108:109], v[110:111], s[28:29], v[88:89]
	v_add_f64 v[96:97], v[96:97], v[114:115]
	v_fma_f64 v[114:115], v[140:141], s[36:37], v[155:156]
	v_fma_f64 v[98:99], v[98:99], s[10:11], -v[104:105]
	v_add_f64 v[68:69], v[74:75], v[68:69]
	v_add_f64 v[72:73], v[116:117], v[72:73]
	;; [unrolled: 1-line block ×5, first 2 shown]
	v_mul_f64 v[201:202], v[110:111], s[24:25]
	v_mul_f64 v[205:206], v[110:111], s[22:23]
	v_mul_f64 v[209:210], v[110:111], s[10:11]
	v_add_f64 v[96:97], v[108:109], v[96:97]
	v_fma_f64 v[88:89], v[110:111], s[28:29], -v[88:89]
	v_add_f64 v[98:99], v[98:99], v[68:69]
	v_add_f64 v[68:69], v[114:115], v[72:73]
	;; [unrolled: 1-line block ×5, first 2 shown]
	v_add_f64 v[110:111], v[173:174], -v[118:119]
	v_add_f64 v[10:11], v[10:11], v[18:19]
	v_add_f64 v[8:9], v[8:9], v[16:17]
	v_add_f64 v[26:27], v[185:186], -v[124:125]
	v_add_f64 v[18:19], v[197:198], -v[126:127]
	v_fma_f64 v[70:71], v[70:71], s[42:43], v[84:85]
	v_add_f64 v[72:73], v[72:73], v[104:105]
	v_add_f64 v[104:105], v[6:7], v[108:109]
	;; [unrolled: 1-line block ×13, first 2 shown]
	v_add_f64 v[32:33], v[165:166], -v[52:53]
	v_add_f64 v[34:35], v[169:170], -v[86:87]
	;; [unrolled: 1-line block ×3, first 2 shown]
	v_add_f64 v[24:25], v[142:143], v[211:212]
	v_add_f64 v[72:73], v[98:99], v[72:73]
	;; [unrolled: 1-line block ×12, first 2 shown]
	v_add_f64 v[26:27], v[177:178], -v[54:55]
	v_add_f64 v[10:11], v[30:31], v[10:11]
	v_add_f64 v[8:9], v[28:29], v[8:9]
	v_add_f64 v[38:39], v[189:190], -v[60:61]
	v_add_f64 v[34:35], v[193:194], -v[94:95]
	v_add_f64 v[4:5], v[52:53], v[4:5]
	v_add_f64 v[70:71], v[227:228], v[70:71]
	;; [unrolled: 1-line block ×9, first 2 shown]
	v_mul_f64 v[213:214], v[144:145], s[28:29]
	v_add_f64 v[30:31], v[66:67], v[203:204]
	v_add_f64 v[6:7], v[36:37], v[6:7]
	v_add_f64 v[32:33], v[201:202], -v[64:65]
	v_add_f64 v[26:27], v[38:39], v[26:27]
	v_mul_f64 v[217:218], v[144:145], s[10:11]
	v_add_f64 v[28:29], v[205:206], -v[106:107]
	v_add_f64 v[4:5], v[34:35], v[4:5]
	v_mul_f64 v[221:222], v[144:145], s[24:25]
	v_add_f64 v[12:13], v[209:210], -v[130:131]
	v_fma_f64 v[84:85], v[120:121], s[34:35], v[149:150]
	v_add_f64 v[70:71], v[233:234], v[70:71]
	v_mul_f64 v[90:91], v[136:137], s[36:37]
	v_add_f64 v[16:17], v[146:147], v[241:242]
	v_add_f64 v[18:19], v[132:133], v[219:220]
	v_add_f64 v[58:59], v[72:73], v[98:99]
	v_add_f64 v[40:41], v[46:47], v[10:11]
	v_add_f64 v[8:9], v[44:45], v[8:9]
	v_add_f64 v[36:37], v[82:83], v[215:216]
	v_add_f64 v[30:31], v[30:31], v[6:7]
	v_add_f64 v[38:39], v[213:214], -v[80:81]
	v_add_f64 v[26:27], v[32:33], v[26:27]
	v_add_f64 v[34:35], v[217:218], -v[112:113]
	v_add_f64 v[4:5], v[28:29], v[4:5]
	;; [unrolled: 2-line block ×3, first 2 shown]
	v_add_f64 v[70:71], v[84:85], v[70:71]
	v_fma_f64 v[84:85], v[144:145], s[8:9], v[90:91]
	v_fma_f64 v[90:91], v[144:145], s[8:9], -v[90:91]
	v_fma_f64 v[74:75], v[140:141], s[16:17], v[155:156]
	v_add_f64 v[6:7], v[16:17], v[24:25]
	v_add_f64 v[10:11], v[18:19], v[58:59]
	;; [unrolled: 1-line block ×11, first 2 shown]
	v_lshlrev_b32_e32 v0, 4, v232
	ds_write_b128 v0, v[16:19]
	ds_write_b128 v0, v[12:15] offset:16
	ds_write_b128 v0, v[8:11] offset:32
	ds_write_b128 v0, v[4:7] offset:48
	ds_write_b128 v0, v[66:69] offset:64
	ds_write_b128 v0, v[161:164] offset:80
	ds_write_b128 v0, v[157:160] offset:96
	ds_write_b128 v0, v[24:27] offset:112
	ds_write_b128 v0, v[20:23] offset:128
	ds_write_b128 v0, v[76:79] offset:144
	ds_write_b128 v0, v[252:255] offset:160
.LBB0_7:
	s_or_b64 exec, exec, s[18:19]
	s_load_dwordx4 s[8:11], s[2:3], 0x0
	s_movk_i32 s2, 0x1ef
	v_add_co_u32_e32 v0, vcc, s2, v230
	s_movk_i32 s2, 0x75
	v_mul_lo_u16_sdwa v1, v230, s2 dst_sel:DWORD dst_unused:UNUSED_PAD src0_sel:BYTE_0 src1_sel:DWORD
	v_sub_u16_sdwa v2, v230, v1 dst_sel:DWORD dst_unused:UNUSED_PAD src0_sel:DWORD src1_sel:BYTE_1
	v_lshrrev_b16_e32 v2, 1, v2
	v_and_b32_e32 v2, 0x7f, v2
	v_add_u16_sdwa v1, v2, v1 dst_sel:DWORD dst_unused:UNUSED_PAD src0_sel:DWORD src1_sel:BYTE_1
	v_lshrrev_b16_e32 v1, 3, v1
	v_add_u16_e32 v116, 0xa5, v230
	v_mul_lo_u16_e32 v2, 11, v1
	v_mul_u32_u24_e32 v36, 0xba2f, v116
	v_sub_u16_e32 v2, v230, v2
	v_lshrrev_b32_e32 v41, 19, v36
	v_and_b32_e32 v2, 0xff, v2
	s_mov_b32 s2, 0xba2f
	v_mul_lo_u16_e32 v4, 11, v41
	v_add_u16_e32 v84, 0x14a, v230
	v_lshlrev_b32_e32 v3, 4, v2
	v_sub_u16_e32 v42, v116, v4
	v_mul_u32_u24_e32 v44, 0xba2f, v84
	v_mul_u32_u24_sdwa v13, v0, s2 dst_sel:DWORD dst_unused:UNUSED_PAD src0_sel:WORD_0 src1_sel:DWORD
	s_waitcnt lgkmcnt(0)
	s_barrier
	v_lshlrev_b32_e32 v12, 4, v42
	global_load_dwordx4 v[238:241], v3, s[14:15]
	global_load_dwordx4 v[234:237], v12, s[14:15]
	v_lshrrev_b32_e32 v3, 19, v44
	v_lshrrev_b32_e32 v61, 19, v13
	v_mul_lo_u16_e32 v12, 11, v3
	v_mul_lo_u16_e32 v13, 11, v61
	v_sub_u16_e32 v43, v84, v12
	v_sub_u16_e32 v0, v0, v13
	v_lshlrev_b32_e32 v12, 4, v43
	v_lshlrev_b32_e32 v16, 4, v0
	global_load_dwordx4 v[4:7], v12, s[14:15]
	global_load_dwordx4 v[8:11], v16, s[14:15]
	v_mov_b32_e32 v24, 4
	v_lshlrev_b32_sdwa v231, v24, v230 dst_sel:DWORD dst_unused:UNUSED_PAD src0_sel:DWORD src1_sel:WORD_0
	ds_read_b128 v[24:27], v231
	ds_read_b128 v[28:31], v231 offset:2640
	ds_read_b128 v[32:35], v231 offset:10560
	;; [unrolled: 1-line block ×7, first 2 shown]
	v_mad_legacy_u16 v41, v41, 22, v42
	v_lshlrev_b32_e32 v186, 4, v41
	v_mad_legacy_u16 v0, v61, 22, v0
	s_waitcnt vmcnt(0) lgkmcnt(0)
	s_barrier
	v_mad_legacy_u16 v3, v3, 22, v43
	v_mul_u32_u24_e32 v1, 22, v1
	v_lshlrev_b32_e32 v3, 4, v3
	v_add_lshl_u32 v243, v1, v2, 4
	v_lshlrev_b32_e32 v242, 4, v0
	s_movk_i32 s2, 0x6e
	v_cmp_gt_u16_e64 s[2:3], s2, v230
	v_mul_f64 v[41:42], v[34:35], v[240:241]
	v_mul_f64 v[61:62], v[32:33], v[240:241]
	;; [unrolled: 1-line block ×4, first 2 shown]
	v_fma_f64 v[32:33], v[32:33], v[238:239], -v[41:42]
	v_fma_f64 v[34:35], v[34:35], v[238:239], v[61:62]
	v_mul_f64 v[67:68], v[55:56], v[6:7]
	v_mul_f64 v[71:72], v[59:60], v[10:11]
	;; [unrolled: 1-line block ×4, first 2 shown]
	v_fma_f64 v[37:38], v[37:38], v[234:235], -v[63:64]
	v_fma_f64 v[39:40], v[39:40], v[234:235], v[65:66]
	v_add_f64 v[32:33], v[24:25], -v[32:33]
	v_add_f64 v[34:35], v[26:27], -v[34:35]
	v_fma_f64 v[41:42], v[53:54], v[4:5], -v[67:68]
	buffer_store_dword v4, off, s[44:47], 0 ; 4-byte Folded Spill
	s_nop 0
	buffer_store_dword v5, off, s[44:47], 0 offset:4 ; 4-byte Folded Spill
	buffer_store_dword v6, off, s[44:47], 0 offset:8 ; 4-byte Folded Spill
	;; [unrolled: 1-line block ×3, first 2 shown]
	v_fma_f64 v[57:58], v[57:58], v[8:9], -v[71:72]
	buffer_store_dword v8, off, s[44:47], 0 offset:32 ; 4-byte Folded Spill
	s_nop 0
	buffer_store_dword v9, off, s[44:47], 0 offset:36 ; 4-byte Folded Spill
	buffer_store_dword v10, off, s[44:47], 0 offset:40 ; 4-byte Folded Spill
	;; [unrolled: 1-line block ×3, first 2 shown]
	v_add_f64 v[37:38], v[28:29], -v[37:38]
	v_add_f64 v[39:40], v[30:31], -v[39:40]
	v_fma_f64 v[64:65], v[24:25], 2.0, -v[32:33]
	v_fma_f64 v[66:67], v[26:27], 2.0, -v[34:35]
	v_add_f64 v[53:54], v[45:46], -v[41:42]
	v_fma_f64 v[28:29], v[28:29], 2.0, -v[37:38]
	v_fma_f64 v[30:31], v[30:31], 2.0, -v[39:40]
	;; [unrolled: 1-line block ×3, first 2 shown]
	v_fma_f64 v[55:56], v[55:56], v[4:5], v[69:70]
	v_fma_f64 v[62:63], v[59:60], v[8:9], v[73:74]
	v_add_f64 v[60:61], v[49:50], -v[57:58]
	v_add_f64 v[55:56], v[47:48], -v[55:56]
	;; [unrolled: 1-line block ×3, first 2 shown]
	v_fma_f64 v[24:25], v[49:50], 2.0, -v[60:61]
	v_fma_f64 v[47:48], v[47:48], 2.0, -v[55:56]
	ds_write_b128 v243, v[32:35] offset:176
	ds_write_b128 v243, v[64:67]
	ds_write_b128 v186, v[28:31]
	ds_write_b128 v186, v[37:40] offset:176
	ds_write_b128 v3, v[45:48]
	v_fma_f64 v[26:27], v[51:52], 2.0, -v[62:63]
	buffer_store_dword v3, off, s[44:47], 0 offset:16 ; 4-byte Folded Spill
	ds_write_b128 v3, v[53:56] offset:176
	ds_write_b128 v242, v[24:27]
	ds_write_b128 v242, v[60:63] offset:176
	s_waitcnt vmcnt(0) lgkmcnt(0)
	s_barrier
	ds_read_b128 v[28:31], v231
	ds_read_b128 v[32:35], v231 offset:2640
	ds_read_b128 v[64:67], v231 offset:7040
	ds_read_b128 v[72:75], v231 offset:9680
	ds_read_b128 v[68:71], v231 offset:14080
	ds_read_b128 v[80:83], v231 offset:16720
	s_and_saveexec_b64 s[4:5], s[2:3]
	s_cbranch_execz .LBB0_9
; %bb.8:
	ds_read_b128 v[24:27], v231 offset:5280
	ds_read_b128 v[60:63], v231 offset:12320
	;; [unrolled: 1-line block ×3, first 2 shown]
.LBB0_9:
	s_or_b64 exec, exec, s[4:5]
	v_lshrrev_b16_e32 v0, 1, v230
	v_lshrrev_b32_e32 v2, 20, v36
	v_and_b32_e32 v0, 0x7f, v0
	v_mul_lo_u16_e32 v3, 22, v2
	v_mul_lo_u16_e32 v0, 0xbb, v0
	v_sub_u16_e32 v3, v116, v3
	v_lshrrev_b32_e32 v233, 20, v44
	v_lshrrev_b16_e32 v0, 11, v0
	v_lshlrev_b16_e32 v36, 5, v3
	v_mul_lo_u16_e32 v44, 22, v233
	v_mul_lo_u16_e32 v1, 22, v0
	v_mov_b32_e32 v47, s15
	v_add_co_u32_e32 v45, vcc, s14, v36
	v_sub_u16_e32 v185, v84, v44
	v_addc_co_u32_e32 v46, vcc, 0, v47, vcc
	v_lshlrev_b16_e32 v44, 5, v185
	v_sub_u16_e32 v1, v230, v1
	v_add_co_u32_e32 v52, vcc, s14, v44
	v_and_b32_e32 v1, 0xff, v1
	v_addc_co_u32_e32 v53, vcc, 0, v47, vcc
	v_lshlrev_b32_e32 v85, 5, v1
	global_load_dwordx4 v[36:39], v[45:46], off offset:192
	global_load_dwordx4 v[40:43], v[45:46], off offset:176
	s_nop 0
	global_load_dwordx4 v[44:47], v[52:53], off offset:192
	global_load_dwordx4 v[48:51], v[52:53], off offset:176
	global_load_dwordx4 v[56:59], v85, s[14:15] offset:176
	s_nop 0
	global_load_dwordx4 v[52:55], v85, s[14:15] offset:192
	s_mov_b32 s4, 0xe8584caa
	s_mov_b32 s5, 0x3febb67a
	s_mov_b32 s17, 0xbfebb67a
	s_mov_b32 s16, s4
	s_movk_i32 s18, 0x42
	v_mad_legacy_u16 v2, v2, s18, v3
	v_mul_u32_u24_e32 v0, 0x42, v0
	v_lshlrev_b32_e32 v2, 4, v2
	v_add_lshl_u32 v0, v0, v1, 4
	s_waitcnt vmcnt(0) lgkmcnt(0)
	s_barrier
	v_mul_f64 v[89:90], v[82:83], v[38:39]
	v_mul_f64 v[85:86], v[74:75], v[42:43]
	;; [unrolled: 1-line block ×12, first 2 shown]
	v_fma_f64 v[72:73], v[72:73], v[40:41], -v[85:86]
	v_fma_f64 v[74:75], v[74:75], v[40:41], v[87:88]
	v_fma_f64 v[80:81], v[80:81], v[36:37], -v[89:90]
	v_fma_f64 v[82:83], v[82:83], v[36:37], v[91:92]
	;; [unrolled: 2-line block ×6, first 2 shown]
	v_add_f64 v[68:69], v[32:33], v[72:73]
	v_add_f64 v[70:71], v[72:73], v[80:81]
	v_add_f64 v[92:93], v[74:75], -v[82:83]
	v_add_f64 v[87:88], v[34:35], v[74:75]
	v_add_f64 v[74:75], v[74:75], v[82:83]
	v_add_f64 v[94:95], v[24:25], v[60:61]
	v_add_f64 v[96:97], v[60:61], v[85:86]
	v_add_f64 v[98:99], v[62:63], -v[90:91]
	v_add_f64 v[100:101], v[26:27], v[62:63]
	v_add_f64 v[62:63], v[62:63], v[90:91]
	v_add_f64 v[102:103], v[60:61], -v[85:86]
	v_add_f64 v[60:61], v[28:29], v[20:21]
	v_add_f64 v[104:105], v[20:21], v[64:65]
	v_add_f64 v[110:111], v[22:23], v[66:67]
	v_add_f64 v[72:73], v[72:73], -v[80:81]
	v_add_f64 v[106:107], v[22:23], -v[66:67]
	v_add_f64 v[108:109], v[30:31], v[22:23]
	v_add_f64 v[112:113], v[20:21], -v[64:65]
	v_add_f64 v[20:21], v[68:69], v[80:81]
	v_fma_f64 v[32:33], v[70:71], -0.5, v[32:33]
	v_fma_f64 v[34:35], v[74:75], -0.5, v[34:35]
	;; [unrolled: 1-line block ×5, first 2 shown]
	v_add_f64 v[24:25], v[60:61], v[64:65]
	v_fma_f64 v[64:65], v[110:111], -0.5, v[30:31]
	v_add_f64 v[22:23], v[87:88], v[82:83]
	v_add_f64 v[88:89], v[94:95], v[85:86]
	;; [unrolled: 1-line block ×4, first 2 shown]
	v_fma_f64 v[28:29], v[92:93], s[4:5], v[32:33]
	v_fma_f64 v[80:81], v[92:93], s[16:17], v[32:33]
	;; [unrolled: 1-line block ×12, first 2 shown]
	ds_write_b128 v0, v[24:27]
	ds_write_b128 v0, v[32:35] offset:352
	buffer_store_dword v0, off, s[44:47], 0 offset:24 ; 4-byte Folded Spill
	ds_write_b128 v0, v[60:63] offset:704
	ds_write_b128 v2, v[20:23]
	ds_write_b128 v2, v[28:31] offset:352
	buffer_store_dword v2, off, s[44:47], 0 offset:20 ; 4-byte Folded Spill
	ds_write_b128 v2, v[80:83] offset:704
	s_and_saveexec_b64 s[4:5], s[2:3]
	s_cbranch_execz .LBB0_11
; %bb.10:
	v_mul_u32_u24_e32 v0, 0xba2f, v84
	v_lshrrev_b32_e32 v0, 20, v0
	v_mad_legacy_u16 v0, v0, s18, v185
	v_lshlrev_b32_e32 v0, 4, v0
	ds_write_b128 v0, v[88:91]
	ds_write_b128 v0, v[92:95] offset:352
	ds_write_b128 v0, v[96:99] offset:704
.LBB0_11:
	s_or_b64 exec, exec, s[4:5]
	s_waitcnt vmcnt(0) lgkmcnt(0)
	s_barrier
	ds_read_b128 v[84:87], v231
	ds_read_b128 v[112:115], v231 offset:4224
	ds_read_b128 v[108:111], v231 offset:8448
	;; [unrolled: 1-line block ×4, first 2 shown]
	s_movk_i32 s4, 0x63
	v_cmp_gt_u16_e64 s[4:5], s4, v230
	s_and_saveexec_b64 s[16:17], s[4:5]
	s_cbranch_execz .LBB0_13
; %bb.12:
	ds_read_b128 v[80:83], v231 offset:2640
	ds_read_b128 v[88:91], v231 offset:6864
	;; [unrolled: 1-line block ×5, first 2 shown]
.LBB0_13:
	s_or_b64 exec, exec, s[16:17]
	v_mul_u32_u24_e32 v1, 0xf83f, v116
	v_lshrrev_b32_e32 v177, 22, v1
	v_mul_lo_u16_e32 v1, 0x42, v177
	v_sub_u16_e32 v178, v116, v1
	v_lshlrev_b16_e32 v1, 6, v178
	v_mov_b32_e32 v2, s15
	v_add_co_u32_e32 v60, vcc, s14, v1
	v_addc_co_u32_e32 v61, vcc, 0, v2, vcc
	global_load_dwordx4 v[3:6], v[60:61], off offset:896
	global_load_dwordx4 v[7:10], v[60:61], off offset:880
	;; [unrolled: 1-line block ×4, first 2 shown]
	s_movk_i32 s16, 0xf9
	v_mul_lo_u16_sdwa v0, v230, s16 dst_sel:DWORD dst_unused:UNUSED_PAD src0_sel:BYTE_0 src1_sel:DWORD
	v_lshrrev_b16_e32 v0, 14, v0
	v_mul_lo_u16_e32 v1, 0x42, v0
	v_sub_u16_e32 v1, v230, v1
	v_and_b32_e32 v1, 0xff, v1
	v_lshlrev_b32_e32 v2, 6, v1
	global_load_dwordx4 v[72:75], v2, s[14:15] offset:880
	global_load_dwordx4 v[68:71], v2, s[14:15] offset:896
	;; [unrolled: 1-line block ×4, first 2 shown]
	s_mov_b32 s20, 0x134454ff
	s_mov_b32 s21, 0x3fee6f0e
	;; [unrolled: 1-line block ×10, first 2 shown]
	v_mul_u32_u24_e32 v0, 0x14a, v0
	v_add_lshl_u32 v0, v0, v1, 4
	s_waitcnt vmcnt(7) lgkmcnt(2)
	v_mul_f64 v[120:121], v[94:95], v[5:6]
	s_waitcnt vmcnt(6)
	v_mul_f64 v[116:117], v[90:91], v[9:10]
	s_waitcnt vmcnt(4) lgkmcnt(1)
	v_mul_f64 v[124:125], v[98:99], v[22:23]
	v_mul_f64 v[118:119], v[88:89], v[9:10]
	;; [unrolled: 1-line block ×4, first 2 shown]
	s_waitcnt lgkmcnt(0)
	v_mul_f64 v[128:129], v[78:79], v[13:14]
	v_mul_f64 v[130:131], v[76:77], v[13:14]
	v_fma_f64 v[92:93], v[92:93], v[3:4], -v[120:121]
	v_fma_f64 v[116:117], v[88:89], v[7:8], -v[116:117]
	buffer_store_dword v7, off, s[44:47], 0 offset:64 ; 4-byte Folded Spill
	s_nop 0
	buffer_store_dword v8, off, s[44:47], 0 offset:68 ; 4-byte Folded Spill
	buffer_store_dword v9, off, s[44:47], 0 offset:72 ; 4-byte Folded Spill
	;; [unrolled: 1-line block ×4, first 2 shown]
	s_nop 0
	buffer_store_dword v4, off, s[44:47], 0 offset:52 ; 4-byte Folded Spill
	buffer_store_dword v5, off, s[44:47], 0 offset:56 ; 4-byte Folded Spill
	;; [unrolled: 1-line block ×3, first 2 shown]
	v_fma_f64 v[88:89], v[96:97], v[20:21], -v[124:125]
	buffer_store_dword v20, off, s[44:47], 0 offset:96 ; 4-byte Folded Spill
	s_nop 0
	buffer_store_dword v21, off, s[44:47], 0 offset:100 ; 4-byte Folded Spill
	buffer_store_dword v22, off, s[44:47], 0 offset:104 ; 4-byte Folded Spill
	;; [unrolled: 1-line block ×3, first 2 shown]
	v_fma_f64 v[76:77], v[76:77], v[11:12], -v[128:129]
	buffer_store_dword v11, off, s[44:47], 0 offset:80 ; 4-byte Folded Spill
	s_nop 0
	buffer_store_dword v12, off, s[44:47], 0 offset:84 ; 4-byte Folded Spill
	buffer_store_dword v13, off, s[44:47], 0 offset:88 ; 4-byte Folded Spill
	;; [unrolled: 1-line block ×3, first 2 shown]
	s_waitcnt vmcnt(19)
	v_mul_f64 v[132:133], v[114:115], v[74:75]
	s_waitcnt vmcnt(18)
	v_mul_f64 v[136:137], v[110:111], v[70:71]
	;; [unrolled: 2-line block ×4, first 2 shown]
	v_mul_f64 v[134:135], v[112:113], v[74:75]
	v_mul_f64 v[138:139], v[108:109], v[70:71]
	;; [unrolled: 1-line block ×4, first 2 shown]
	v_fma_f64 v[112:113], v[112:113], v[72:73], -v[132:133]
	v_fma_f64 v[124:125], v[108:109], v[68:69], -v[136:137]
	;; [unrolled: 1-line block ×4, first 2 shown]
	v_fma_f64 v[120:121], v[114:115], v[72:73], v[134:135]
	v_add_f64 v[108:109], v[92:93], -v[88:89]
	v_fma_f64 v[106:107], v[106:107], v[64:65], v[142:143]
	v_fma_f64 v[102:103], v[102:103], v[60:61], v[146:147]
	v_add_f64 v[132:133], v[84:85], v[112:113]
	v_add_f64 v[149:150], v[112:113], -v[124:125]
	v_add_f64 v[136:137], v[124:125], v[104:105]
	v_add_f64 v[153:154], v[112:113], v[100:101]
	v_add_f64 v[151:152], v[100:101], -v[104:105]
	v_add_f64 v[155:156], v[124:125], -v[112:113]
	;; [unrolled: 1-line block ×4, first 2 shown]
	v_add_f64 v[159:160], v[86:87], v[120:121]
	v_add_f64 v[165:166], v[124:125], -v[104:105]
	v_add_f64 v[171:172], v[120:121], v[102:103]
	v_add_f64 v[124:125], v[132:133], v[124:125]
	v_add_f64 v[163:164], v[112:113], -v[100:101]
	v_add_f64 v[169:170], v[102:103], -v[106:107]
	;; [unrolled: 1-line block ×6, first 2 shown]
	v_add_f64 v[104:105], v[124:125], v[104:105]
	s_waitcnt vmcnt(0)
	s_barrier
	v_fma_f64 v[118:119], v[90:91], v[7:8], v[118:119]
	v_fma_f64 v[94:95], v[94:95], v[3:4], v[122:123]
	v_add_f64 v[122:123], v[116:117], v[76:77]
	v_fma_f64 v[90:91], v[98:99], v[20:21], v[126:127]
	v_fma_f64 v[126:127], v[110:111], v[68:69], v[138:139]
	;; [unrolled: 1-line block ×3, first 2 shown]
	v_add_f64 v[110:111], v[92:93], v[88:89]
	v_add_f64 v[98:99], v[116:117], -v[76:77]
	v_add_f64 v[138:139], v[76:77], -v[88:89]
	v_fma_f64 v[112:113], v[122:123], -0.5, v[80:81]
	v_add_f64 v[128:129], v[94:95], v[90:91]
	v_add_f64 v[144:145], v[126:127], -v[106:107]
	v_add_f64 v[130:131], v[118:119], v[78:79]
	v_add_f64 v[161:162], v[126:127], v[106:107]
	v_add_f64 v[167:168], v[120:121], -v[126:127]
	v_add_f64 v[173:174], v[126:127], -v[120:121]
	v_add_f64 v[126:127], v[159:160], v[126:127]
	v_add_f64 v[96:97], v[118:119], -v[78:79]
	v_fma_f64 v[120:121], v[128:129], -0.5, v[82:83]
	v_fma_f64 v[128:129], v[136:137], -0.5, v[84:85]
	;; [unrolled: 1-line block ×4, first 2 shown]
	v_add_f64 v[136:137], v[149:150], v[151:152]
	v_add_f64 v[149:150], v[155:156], v[157:158]
	v_fma_f64 v[130:131], v[161:162], -0.5, v[86:87]
	v_fma_f64 v[86:87], v[171:172], -0.5, v[86:87]
	v_add_f64 v[114:115], v[94:95], -v[90:91]
	v_fma_f64 v[124:125], v[140:141], s[20:21], v[128:129]
	v_fma_f64 v[132:133], v[140:141], s[22:23], v[128:129]
	;; [unrolled: 1-line block ×4, first 2 shown]
	v_fma_f64 v[110:111], v[110:111], -0.5, v[80:81]
	v_add_f64 v[106:107], v[126:127], v[106:107]
	v_fma_f64 v[159:160], v[163:164], s[20:21], v[130:131]
	v_fma_f64 v[161:162], v[165:166], s[20:21], v[86:87]
	;; [unrolled: 1-line block ×3, first 2 shown]
	v_add_f64 v[128:129], v[104:105], v[100:101]
	v_fma_f64 v[100:101], v[144:145], s[16:17], v[124:125]
	v_fma_f64 v[104:105], v[144:145], s[24:25], v[132:133]
	;; [unrolled: 1-line block ×6, first 2 shown]
	v_add_f64 v[130:131], v[106:107], v[102:103]
	v_fma_f64 v[106:107], v[165:166], s[16:17], v[159:160]
	v_fma_f64 v[157:158], v[163:164], s[24:25], v[161:162]
	;; [unrolled: 1-line block ×8, first 2 shown]
	v_add_f64 v[86:87], v[118:119], -v[94:95]
	v_add_f64 v[100:101], v[78:79], -v[90:91]
	v_fma_f64 v[104:105], v[98:99], s[20:21], v[120:121]
	v_add_f64 v[149:150], v[94:95], -v[118:119]
	v_add_f64 v[161:162], v[90:91], -v[78:79]
	v_fma_f64 v[163:164], v[108:109], s[22:23], v[122:123]
	v_add_f64 v[151:152], v[167:168], v[169:170]
	v_fma_f64 v[102:103], v[165:166], s[24:25], v[126:127]
	v_add_f64 v[126:127], v[134:135], v[138:139]
	;; [unrolled: 2-line block ×6, first 2 shown]
	v_fma_f64 v[134:135], v[151:152], s[18:19], v[102:103]
	v_fma_f64 v[138:139], v[151:152], s[18:19], v[106:107]
	;; [unrolled: 1-line block ×5, first 2 shown]
	s_movk_i32 s24, 0x14a
	v_fma_f64 v[102:103], v[86:87], s[18:19], v[149:150]
	v_fma_f64 v[142:143], v[153:154], s[18:19], v[157:158]
	;; [unrolled: 1-line block ×3, first 2 shown]
	ds_write_b128 v0, v[128:131]
	ds_write_b128 v0, v[132:135] offset:1056
	ds_write_b128 v0, v[140:143] offset:2112
	;; [unrolled: 1-line block ×3, first 2 shown]
	buffer_store_dword v0, off, s[44:47], 0 offset:28 ; 4-byte Folded Spill
	ds_write_b128 v0, v[136:139] offset:4224
	s_and_saveexec_b64 s[22:23], s[4:5]
	s_cbranch_execz .LBB0_15
; %bb.14:
	v_mul_f64 v[132:133], v[108:109], s[20:21]
	v_add_f64 v[82:83], v[82:83], v[118:119]
	v_add_f64 v[80:81], v[80:81], v[116:117]
	v_mul_f64 v[128:129], v[96:97], s[20:21]
	v_mul_f64 v[134:135], v[98:99], s[20:21]
	v_mul_f64 v[130:131], v[114:115], s[16:17]
	v_mul_f64 v[114:115], v[114:115], s[20:21]
	v_mul_f64 v[98:99], v[98:99], s[16:17]
	v_add_f64 v[118:119], v[132:133], v[122:123]
	v_add_f64 v[82:83], v[82:83], v[94:95]
	;; [unrolled: 1-line block ×3, first 2 shown]
	v_mul_f64 v[108:109], v[108:109], s[16:17]
	v_add_f64 v[120:121], v[120:121], -v[134:135]
	v_add_f64 v[92:93], v[110:111], v[128:129]
	v_mul_f64 v[96:97], v[96:97], s[16:17]
	v_add_f64 v[94:95], v[112:113], -v[114:115]
	v_mul_f64 v[86:87], v[86:87], s[18:19]
	v_add_f64 v[98:99], v[118:119], -v[98:99]
	v_add_f64 v[82:83], v[82:83], v[90:91]
	v_add_f64 v[90:91], v[80:81], v[88:89]
	v_mul_f64 v[126:127], v[126:127], s[18:19]
	v_mul_f64 v[84:85], v[84:85], s[18:19]
	v_add_f64 v[108:109], v[120:121], -v[108:109]
	v_add_f64 v[92:93], v[130:131], v[92:93]
	v_mul_f64 v[116:117], v[124:125], s[18:19]
	v_add_f64 v[94:95], v[96:97], v[94:95]
	v_add_f64 v[80:81], v[86:87], v[98:99]
	;; [unrolled: 1-line block ×4, first 2 shown]
	v_mad_legacy_u16 v0, v177, s24, v178
	v_add_f64 v[84:85], v[84:85], v[108:109]
	v_add_f64 v[82:83], v[126:127], v[92:93]
	v_lshlrev_b32_e32 v0, 4, v0
	v_add_f64 v[78:79], v[116:117], v[94:95]
	ds_write_b128 v0, v[86:89]
	ds_write_b128 v0, v[82:85] offset:1056
	ds_write_b128 v0, v[78:81] offset:2112
	;; [unrolled: 1-line block ×4, first 2 shown]
.LBB0_15:
	s_or_b64 exec, exec, s[22:23]
	v_mad_u64_u32 v[92:93], s[14:15], v230, 48, s[14:15]
	s_movk_i32 s14, 0x13f0
	s_movk_i32 s15, 0x3000
	v_add_co_u32_e32 v88, vcc, s14, v92
	v_addc_co_u32_e32 v89, vcc, 0, v93, vcc
	s_movk_i32 s14, 0x1000
	v_add_co_u32_e32 v90, vcc, s14, v92
	v_addc_co_u32_e32 v91, vcc, 0, v93, vcc
	s_waitcnt vmcnt(0) lgkmcnt(0)
	s_barrier
	global_load_dwordx4 v[80:83], v[90:91], off offset:1008
	global_load_dwordx4 v[76:79], v[88:89], off offset:32
	;; [unrolled: 1-line block ×3, first 2 shown]
	v_add_co_u32_e32 v88, vcc, s15, v92
	s_movk_i32 s14, 0x32e0
	v_addc_co_u32_e32 v89, vcc, 0, v93, vcc
	v_add_co_u32_e32 v108, vcc, s14, v92
	v_addc_co_u32_e32 v109, vcc, 0, v93, vcc
	global_load_dwordx4 v[88:91], v[88:89], off offset:736
	s_nop 0
	global_load_dwordx4 v[96:99], v[108:109], off offset:16
	global_load_dwordx4 v[92:95], v[108:109], off offset:32
	ds_read_b128 v[108:111], v231
	ds_read_b128 v[112:115], v231 offset:2640
	ds_read_b128 v[116:119], v231 offset:5280
	;; [unrolled: 1-line block ×7, first 2 shown]
	s_waitcnt vmcnt(5) lgkmcnt(5)
	v_mul_f64 v[140:141], v[118:119], v[82:83]
	v_mul_f64 v[142:143], v[116:117], v[82:83]
	s_waitcnt vmcnt(3) lgkmcnt(3)
	v_mul_f64 v[144:145], v[126:127], v[86:87]
	v_mul_f64 v[146:147], v[124:125], v[86:87]
	s_waitcnt lgkmcnt(1)
	v_mul_f64 v[149:150], v[134:135], v[78:79]
	v_mul_f64 v[151:152], v[132:133], v[78:79]
	v_fma_f64 v[116:117], v[116:117], v[80:81], -v[140:141]
	v_fma_f64 v[118:119], v[118:119], v[80:81], v[142:143]
	v_fma_f64 v[124:125], v[124:125], v[84:85], -v[144:145]
	v_fma_f64 v[126:127], v[126:127], v[84:85], v[146:147]
	s_waitcnt vmcnt(2)
	v_mul_f64 v[153:154], v[122:123], v[90:91]
	v_mul_f64 v[155:156], v[120:121], v[90:91]
	s_waitcnt vmcnt(1)
	v_mul_f64 v[157:158], v[130:131], v[98:99]
	v_mul_f64 v[159:160], v[128:129], v[98:99]
	s_waitcnt vmcnt(0) lgkmcnt(0)
	v_mul_f64 v[161:162], v[138:139], v[94:95]
	v_mul_f64 v[163:164], v[136:137], v[94:95]
	v_fma_f64 v[132:133], v[132:133], v[76:77], -v[149:150]
	v_fma_f64 v[134:135], v[134:135], v[76:77], v[151:152]
	v_fma_f64 v[120:121], v[120:121], v[88:89], -v[153:154]
	v_fma_f64 v[122:123], v[122:123], v[88:89], v[155:156]
	;; [unrolled: 2-line block ×4, first 2 shown]
	v_add_f64 v[140:141], v[108:109], -v[124:125]
	v_add_f64 v[142:143], v[110:111], -v[126:127]
	;; [unrolled: 1-line block ×8, first 2 shown]
	v_fma_f64 v[108:109], v[108:109], 2.0, -v[140:141]
	v_fma_f64 v[110:111], v[110:111], 2.0, -v[142:143]
	;; [unrolled: 1-line block ×8, first 2 shown]
	v_add_f64 v[112:113], v[140:141], -v[126:127]
	v_add_f64 v[114:115], v[142:143], v[124:125]
	v_add_f64 v[124:125], v[132:133], -v[130:131]
	v_add_f64 v[126:127], v[134:135], v[128:129]
	v_add_f64 v[116:117], v[108:109], -v[116:117]
	v_add_f64 v[118:119], v[110:111], -v[118:119]
	v_add_f64 v[128:129], v[136:137], -v[120:121]
	v_add_f64 v[130:131], v[138:139], -v[122:123]
	v_fma_f64 v[120:121], v[140:141], 2.0, -v[112:113]
	v_fma_f64 v[122:123], v[142:143], 2.0, -v[114:115]
	;; [unrolled: 1-line block ×8, first 2 shown]
	ds_write_b128 v231, v[112:115] offset:15840
	ds_write_b128 v231, v[124:127] offset:18480
	;; [unrolled: 1-line block ×6, first 2 shown]
	ds_write_b128 v231, v[108:111]
	ds_write_b128 v231, v[136:139] offset:2640
	s_waitcnt lgkmcnt(0)
	s_barrier
	s_and_saveexec_b64 s[14:15], s[0:1]
	s_cbranch_execz .LBB0_17
; %bb.16:
	v_add_co_u32_e32 v140, vcc, s12, v148
	v_mov_b32_e32 v0, s13
	v_addc_co_u32_e32 v141, vcc, 0, v0, vcc
	v_add_co_u32_e32 v146, vcc, 0x5280, v140
	v_addc_co_u32_e32 v147, vcc, 0, v141, vcc
	v_add_co_u32_e32 v149, vcc, 0x5000, v140
	v_addc_co_u32_e32 v150, vcc, 0, v141, vcc
	global_load_dwordx4 v[149:152], v[149:150], off offset:640
	ds_read_b128 v[142:145], v231
	s_movk_i32 s16, 0x6000
	s_waitcnt vmcnt(0) lgkmcnt(0)
	v_mul_f64 v[153:154], v[144:145], v[151:152]
	v_fma_f64 v[153:154], v[142:143], v[149:150], -v[153:154]
	v_mul_f64 v[142:143], v[142:143], v[151:152]
	v_fma_f64 v[155:156], v[144:145], v[149:150], v[142:143]
	global_load_dwordx4 v[149:152], v[146:147], off offset:1920
	ds_write_b128 v231, v[153:156]
	ds_read_b128 v[142:145], v148 offset:1920
	s_waitcnt vmcnt(0) lgkmcnt(0)
	v_mul_f64 v[153:154], v[144:145], v[151:152]
	v_fma_f64 v[153:154], v[142:143], v[149:150], -v[153:154]
	v_mul_f64 v[142:143], v[142:143], v[151:152]
	v_fma_f64 v[155:156], v[144:145], v[149:150], v[142:143]
	global_load_dwordx4 v[149:152], v[146:147], off offset:3840
	ds_read_b128 v[142:145], v148 offset:3840
	ds_write_b128 v148, v[153:156] offset:1920
	s_waitcnt vmcnt(0) lgkmcnt(1)
	v_mul_f64 v[146:147], v[144:145], v[151:152]
	v_fma_f64 v[153:154], v[142:143], v[149:150], -v[146:147]
	v_mul_f64 v[142:143], v[142:143], v[151:152]
	v_add_co_u32_e32 v146, vcc, s16, v140
	v_addc_co_u32_e32 v147, vcc, 0, v141, vcc
	s_movk_i32 s16, 0x7000
	v_fma_f64 v[155:156], v[144:145], v[149:150], v[142:143]
	global_load_dwordx4 v[149:152], v[146:147], off offset:2304
	ds_read_b128 v[142:145], v148 offset:5760
	ds_write_b128 v148, v[153:156] offset:3840
	s_waitcnt vmcnt(0) lgkmcnt(1)
	v_mul_f64 v[146:147], v[144:145], v[151:152]
	v_fma_f64 v[153:154], v[142:143], v[149:150], -v[146:147]
	v_mul_f64 v[142:143], v[142:143], v[151:152]
	v_add_co_u32_e32 v146, vcc, s16, v140
	v_addc_co_u32_e32 v147, vcc, 0, v141, vcc
	s_mov_b32 s16, 0x8000
	v_fma_f64 v[155:156], v[144:145], v[149:150], v[142:143]
	global_load_dwordx4 v[149:152], v[146:147], off offset:128
	ds_read_b128 v[142:145], v148 offset:7680
	ds_write_b128 v148, v[153:156] offset:5760
	s_waitcnt vmcnt(0) lgkmcnt(1)
	v_mul_f64 v[153:154], v[144:145], v[151:152]
	v_fma_f64 v[153:154], v[142:143], v[149:150], -v[153:154]
	v_mul_f64 v[142:143], v[142:143], v[151:152]
	v_fma_f64 v[155:156], v[144:145], v[149:150], v[142:143]
	global_load_dwordx4 v[149:152], v[146:147], off offset:2048
	ds_read_b128 v[142:145], v148 offset:9600
	ds_write_b128 v148, v[153:156] offset:7680
	s_waitcnt vmcnt(0) lgkmcnt(1)
	v_mul_f64 v[153:154], v[144:145], v[151:152]
	v_fma_f64 v[153:154], v[142:143], v[149:150], -v[153:154]
	v_mul_f64 v[142:143], v[142:143], v[151:152]
	;; [unrolled: 8-line block ×3, first 2 shown]
	v_add_co_u32_e32 v146, vcc, s16, v140
	v_addc_co_u32_e32 v147, vcc, 0, v141, vcc
	s_mov_b32 s16, 0x9000
	v_fma_f64 v[155:156], v[144:145], v[149:150], v[142:143]
	global_load_dwordx4 v[149:152], v[146:147], off offset:1792
	ds_read_b128 v[142:145], v148 offset:13440
	ds_write_b128 v148, v[153:156] offset:11520
	s_waitcnt vmcnt(0) lgkmcnt(1)
	v_mul_f64 v[153:154], v[144:145], v[151:152]
	v_fma_f64 v[153:154], v[142:143], v[149:150], -v[153:154]
	v_mul_f64 v[142:143], v[142:143], v[151:152]
	v_fma_f64 v[155:156], v[144:145], v[149:150], v[142:143]
	global_load_dwordx4 v[149:152], v[146:147], off offset:3712
	ds_read_b128 v[142:145], v148 offset:15360
	ds_write_b128 v148, v[153:156] offset:13440
	s_waitcnt vmcnt(0) lgkmcnt(1)
	v_mul_f64 v[146:147], v[144:145], v[151:152]
	v_fma_f64 v[153:154], v[142:143], v[149:150], -v[146:147]
	v_mul_f64 v[142:143], v[142:143], v[151:152]
	v_add_co_u32_e32 v146, vcc, s16, v140
	v_addc_co_u32_e32 v147, vcc, 0, v141, vcc
	v_fma_f64 v[155:156], v[144:145], v[149:150], v[142:143]
	global_load_dwordx4 v[149:152], v[146:147], off offset:1536
	ds_read_b128 v[142:145], v148 offset:17280
	ds_write_b128 v148, v[153:156] offset:15360
	s_waitcnt vmcnt(0) lgkmcnt(1)
	v_mul_f64 v[140:141], v[144:145], v[151:152]
	v_fma_f64 v[140:141], v[142:143], v[149:150], -v[140:141]
	v_mul_f64 v[142:143], v[142:143], v[151:152]
	v_fma_f64 v[142:143], v[144:145], v[149:150], v[142:143]
	global_load_dwordx4 v[144:147], v[146:147], off offset:3456
	ds_write_b128 v148, v[140:143] offset:17280
	ds_read_b128 v[140:143], v148 offset:19200
	s_waitcnt vmcnt(0) lgkmcnt(0)
	v_mul_f64 v[149:150], v[142:143], v[146:147]
	v_fma_f64 v[149:150], v[140:141], v[144:145], -v[149:150]
	v_mul_f64 v[140:141], v[140:141], v[146:147]
	v_fma_f64 v[151:152], v[142:143], v[144:145], v[140:141]
	ds_write_b128 v148, v[149:152] offset:19200
.LBB0_17:
	s_or_b64 exec, exec, s[14:15]
	s_waitcnt lgkmcnt(0)
	s_barrier
	s_and_saveexec_b64 s[14:15], s[0:1]
	s_cbranch_execz .LBB0_19
; %bb.18:
	ds_read_b128 v[108:111], v231
	ds_read_b128 v[120:123], v231 offset:1920
	ds_read_b128 v[116:119], v231 offset:3840
	;; [unrolled: 1-line block ×10, first 2 shown]
.LBB0_19:
	s_or_b64 exec, exec, s[14:15]
	s_waitcnt lgkmcnt(0)
	v_add_f64 v[153:154], v[122:123], -v[254:255]
	v_add_f64 v[151:152], v[254:255], v[122:123]
	s_mov_b32 s14, 0xd9c712b6
	s_mov_b32 s18, 0x8eee2c13
	;; [unrolled: 1-line block ×4, first 2 shown]
	v_add_f64 v[149:150], v[252:253], v[120:121]
	v_add_f64 v[173:174], v[120:121], -v[252:253]
	v_mul_f64 v[16:17], v[153:154], s[18:19]
	v_mul_f64 v[193:194], v[151:152], s[14:15]
	v_add_f64 v[159:160], v[118:119], -v[106:107]
	v_add_f64 v[157:158], v[106:107], v[118:119]
	s_mov_b32 s16, 0x640f44db
	s_mov_b32 s20, 0x43842ef
	;; [unrolled: 1-line block ×6, first 2 shown]
	v_mul_f64 v[203:204], v[153:154], s[20:21]
	v_fma_f64 v[140:141], v[149:150], s[14:15], -v[16:17]
	v_fma_f64 v[142:143], v[173:174], s[18:19], v[193:194]
	v_mul_f64 v[205:206], v[151:152], s[16:17]
	v_add_f64 v[155:156], v[104:105], v[116:117]
	v_add_f64 v[165:166], v[116:117], -v[104:105]
	v_mul_f64 v[191:192], v[159:160], s[26:27]
	v_mul_f64 v[201:202], v[157:158], s[22:23]
	v_add_f64 v[167:168], v[114:115], -v[102:103]
	v_add_f64 v[163:164], v[114:115], v[102:103]
	s_mov_b32 s24, 0x9bcd5057
	s_mov_b32 s25, 0xbfeeb42a
	;; [unrolled: 1-line block ×4, first 2 shown]
	v_add_f64 v[140:141], v[108:109], v[140:141]
	v_add_f64 v[142:143], v[110:111], v[142:143]
	v_fma_f64 v[144:145], v[149:150], s[16:17], -v[203:204]
	v_fma_f64 v[146:147], v[173:174], s[20:21], v[205:206]
	v_fma_f64 v[169:170], v[155:156], s[22:23], -v[191:192]
	v_fma_f64 v[171:172], v[165:166], s[26:27], v[201:202]
	v_mul_f64 v[211:212], v[159:160], s[30:31]
	v_mul_f64 v[217:218], v[157:158], s[24:25]
	v_add_f64 v[161:162], v[112:113], v[100:101]
	v_add_f64 v[175:176], v[112:113], -v[100:101]
	v_mul_f64 v[0:1], v[167:168], s[30:31]
	v_mul_f64 v[207:208], v[163:164], s[24:25]
	s_mov_b32 s39, 0x3fed1bb4
	s_mov_b32 s38, s18
	v_add_f64 v[144:145], v[108:109], v[144:145]
	v_add_f64 v[146:147], v[110:111], v[146:147]
	;; [unrolled: 1-line block ×4, first 2 shown]
	v_fma_f64 v[169:170], v[155:156], s[24:25], -v[211:212]
	v_fma_f64 v[171:172], v[165:166], s[30:31], v[217:218]
	v_fma_f64 v[179:180], v[161:162], s[24:25], -v[0:1]
	v_fma_f64 v[181:182], v[175:176], s[30:31], v[207:208]
	v_mul_f64 v[213:214], v[167:168], s[38:39]
	v_mul_f64 v[219:220], v[163:164], s[14:15]
	s_mov_b32 s34, 0x8764f0ba
	s_mov_b32 s36, 0xf8bb580b
	v_add_f64 v[144:145], v[169:170], v[144:145]
	v_add_f64 v[146:147], v[171:172], v[146:147]
	;; [unrolled: 1-line block ×4, first 2 shown]
	v_add_f64 v[179:180], v[138:139], -v[126:127]
	v_add_f64 v[171:172], v[138:139], v[126:127]
	v_fma_f64 v[181:182], v[161:162], s[14:15], -v[213:214]
	s_mov_b32 s41, 0x3fefac9e
	s_mov_b32 s40, s20
	;; [unrolled: 1-line block ×4, first 2 shown]
	v_fma_f64 v[183:184], v[175:176], s[38:39], v[219:220]
	v_add_f64 v[169:170], v[136:137], v[124:125]
	v_add_f64 v[187:188], v[136:137], -v[124:125]
	v_mul_f64 v[189:190], v[179:180], s[40:41]
	v_mul_f64 v[209:210], v[171:172], s[16:17]
	;; [unrolled: 1-line block ×4, first 2 shown]
	v_add_f64 v[144:145], v[181:182], v[144:145]
	v_add_f64 v[195:196], v[134:135], -v[130:131]
	v_add_f64 v[181:182], v[130:131], v[134:135]
	s_mov_b32 s43, 0x3fe14ced
	s_mov_b32 s42, s36
	v_add_f64 v[146:147], v[183:184], v[146:147]
	v_fma_f64 v[244:245], v[169:170], s[16:17], -v[189:190]
	v_fma_f64 v[246:247], v[187:188], s[40:41], v[209:210]
	v_fma_f64 v[248:249], v[169:170], s[34:35], -v[221:222]
	v_fma_f64 v[250:251], v[187:188], s[36:37], v[225:226]
	v_add_f64 v[183:184], v[128:129], v[132:133]
	v_add_f64 v[197:198], v[132:133], -v[128:129]
	v_mul_f64 v[199:200], v[195:196], s[42:43]
	v_mul_f64 v[215:216], v[181:182], s[34:35]
	;; [unrolled: 1-line block ×4, first 2 shown]
	v_add_f64 v[140:141], v[244:245], v[140:141]
	v_add_f64 v[142:143], v[246:247], v[142:143]
	;; [unrolled: 1-line block ×4, first 2 shown]
	v_fma_f64 v[244:245], v[183:184], s[34:35], -v[199:200]
	v_fma_f64 v[246:247], v[197:198], s[42:43], v[215:216]
	v_fma_f64 v[248:249], v[183:184], s[22:23], -v[223:224]
	v_fma_f64 v[250:251], v[197:198], s[26:27], v[227:228]
	s_barrier
	v_add_f64 v[140:141], v[244:245], v[140:141]
	v_add_f64 v[142:143], v[246:247], v[142:143]
	;; [unrolled: 1-line block ×4, first 2 shown]
	s_and_saveexec_b64 s[28:29], s[0:1]
	s_cbranch_execz .LBB0_21
; %bb.20:
	v_mul_f64 v[4:5], v[149:150], s[14:15]
	v_mov_b32_e32 v12, v238
	v_mul_f64 v[248:249], v[165:166], s[42:43]
	v_mov_b32_e32 v13, v239
	v_mov_b32_e32 v14, v240
	;; [unrolled: 1-line block ×3, first 2 shown]
	v_mul_f64 v[238:239], v[159:160], s[42:43]
	v_mul_f64 v[24:25], v[175:176], s[26:27]
	buffer_store_dword v4, off, s[44:47], 0 offset:168 ; 4-byte Folded Spill
	s_nop 0
	buffer_store_dword v5, off, s[44:47], 0 offset:172 ; 4-byte Folded Spill
	v_mul_f64 v[4:5], v[173:174], s[18:19]
	v_fma_f64 v[26:27], v[157:158], s[34:35], v[248:249]
	v_mul_f64 v[28:29], v[167:168], s[26:27]
	v_mul_f64 v[32:33], v[187:188], s[38:39]
	v_fma_f64 v[248:249], v[157:158], s[34:35], -v[248:249]
	v_fma_f64 v[30:31], v[155:156], s[34:35], -v[238:239]
	v_fma_f64 v[34:35], v[163:164], s[22:23], v[24:25]
	v_mov_b32_e32 v18, v232
	buffer_store_dword v4, off, s[44:47], 0 offset:192 ; 4-byte Folded Spill
	s_nop 0
	buffer_store_dword v5, off, s[44:47], 0 offset:196 ; 4-byte Folded Spill
	v_mul_f64 v[4:5], v[149:150], s[16:17]
	v_mov_b32_e32 v232, v229
	v_fma_f64 v[24:25], v[163:164], s[22:23], -v[24:25]
	v_mov_b32_e32 v8, v234
	v_mov_b32_e32 v9, v235
	;; [unrolled: 1-line block ×4, first 2 shown]
	v_mul_f64 v[236:237], v[197:198], s[38:39]
	buffer_store_dword v4, off, s[44:47], 0 offset:216 ; 4-byte Folded Spill
	s_nop 0
	buffer_store_dword v5, off, s[44:47], 0 offset:220 ; 4-byte Folded Spill
	v_mul_f64 v[4:5], v[173:174], s[20:21]
	v_mov_b32_e32 v22, v243
	v_mul_f64 v[20:21], v[187:188], s[36:37]
	v_add_f64 v[122:123], v[110:111], v[122:123]
	v_add_f64 v[120:121], v[108:109], v[120:121]
	buffer_store_dword v4, off, s[44:47], 0 offset:256 ; 4-byte Folded Spill
	s_nop 0
	buffer_store_dword v5, off, s[44:47], 0 offset:260 ; 4-byte Folded Spill
	v_mul_f64 v[4:5], v[155:156], s[22:23]
	buffer_store_dword v4, off, s[44:47], 0 offset:152 ; 4-byte Folded Spill
	s_nop 0
	buffer_store_dword v5, off, s[44:47], 0 offset:156 ; 4-byte Folded Spill
	v_mul_f64 v[4:5], v[165:166], s[26:27]
	;; [unrolled: 4-line block ×6, first 2 shown]
	s_mov_b32 s31, 0xbfd207e7
	v_mul_f64 v[244:245], v[173:174], s[30:31]
	v_mul_f64 v[246:247], v[153:154], s[30:31]
	;; [unrolled: 1-line block ×3, first 2 shown]
	buffer_store_dword v4, off, s[44:47], 0 offset:176 ; 4-byte Folded Spill
	s_nop 0
	buffer_store_dword v5, off, s[44:47], 0 offset:180 ; 4-byte Folded Spill
	v_mul_f64 v[4:5], v[161:162], s[14:15]
	v_fma_f64 v[250:251], v[151:152], s[24:25], v[244:245]
	v_fma_f64 v[240:241], v[149:150], s[24:25], -v[246:247]
	v_fma_f64 v[244:245], v[151:152], s[24:25], -v[244:245]
	buffer_store_dword v4, off, s[44:47], 0 offset:224 ; 4-byte Folded Spill
	s_nop 0
	buffer_store_dword v5, off, s[44:47], 0 offset:228 ; 4-byte Folded Spill
	v_mul_f64 v[4:5], v[175:176], s[38:39]
	v_add_f64 v[250:251], v[110:111], v[250:251]
	v_add_f64 v[240:241], v[108:109], v[240:241]
	;; [unrolled: 1-line block ×3, first 2 shown]
	buffer_store_dword v4, off, s[44:47], 0 offset:264 ; 4-byte Folded Spill
	s_nop 0
	buffer_store_dword v5, off, s[44:47], 0 offset:268 ; 4-byte Folded Spill
	v_mul_f64 v[4:5], v[169:170], s[16:17]
	v_add_f64 v[26:27], v[26:27], v[250:251]
	v_fma_f64 v[250:251], v[161:162], s[22:23], -v[28:29]
	v_add_f64 v[30:31], v[30:31], v[240:241]
	v_mul_f64 v[240:241], v[197:198], s[20:21]
	v_add_f64 v[244:245], v[248:249], v[244:245]
	buffer_store_dword v4, off, s[44:47], 0 offset:136 ; 4-byte Folded Spill
	s_nop 0
	buffer_store_dword v5, off, s[44:47], 0 offset:140 ; 4-byte Folded Spill
	v_mul_f64 v[4:5], v[187:188], s[40:41]
	v_add_f64 v[26:27], v[34:35], v[26:27]
	v_mul_f64 v[34:35], v[195:196], s[20:21]
	v_add_f64 v[30:31], v[250:251], v[30:31]
	v_add_f64 v[24:25], v[24:25], v[244:245]
	v_fma_f64 v[244:245], v[181:182], s[16:17], v[240:241]
	v_fma_f64 v[250:251], v[149:150], s[24:25], v[246:247]
	v_fma_f64 v[240:241], v[181:182], s[16:17], -v[240:241]
	buffer_store_dword v4, off, s[44:47], 0 offset:208 ; 4-byte Folded Spill
	s_nop 0
	buffer_store_dword v5, off, s[44:47], 0 offset:212 ; 4-byte Folded Spill
	v_mul_f64 v[4:5], v[169:170], s[34:35]
	buffer_store_dword v4, off, s[44:47], 0 offset:240 ; 4-byte Folded Spill
	s_nop 0
	buffer_store_dword v5, off, s[44:47], 0 offset:244 ; 4-byte Folded Spill
	v_mul_f64 v[4:5], v[183:184], s[34:35]
	buffer_store_dword v4, off, s[44:47], 0 offset:144 ; 4-byte Folded Spill
	s_nop 0
	buffer_store_dword v5, off, s[44:47], 0 offset:148 ; 4-byte Folded Spill
	buffer_store_dword v185, off, s[44:47], 0 offset:120 ; 4-byte Folded Spill
	v_mov_b32_e32 v185, v148
	v_mov_b32_e32 v148, v233
	;; [unrolled: 1-line block ×3, first 2 shown]
	v_mul_f64 v[229:230], v[179:180], s[38:39]
	v_mul_f64 v[4:5], v[197:198], s[42:43]
	buffer_store_dword v0, off, s[44:47], 0 offset:160 ; 4-byte Folded Spill
	s_nop 0
	buffer_store_dword v1, off, s[44:47], 0 offset:164 ; 4-byte Folded Spill
	v_fma_f64 v[0:1], v[171:172], s[14:15], v[32:33]
	buffer_store_dword v4, off, s[44:47], 0 offset:248 ; 4-byte Folded Spill
	s_nop 0
	buffer_store_dword v5, off, s[44:47], 0 offset:252 ; 4-byte Folded Spill
	v_fma_f64 v[248:249], v[169:170], s[14:15], -v[229:230]
	v_mul_f64 v[4:5], v[183:184], s[22:23]
	v_fma_f64 v[32:33], v[171:172], s[14:15], -v[32:33]
	v_add_f64 v[0:1], v[0:1], v[26:27]
	v_fma_f64 v[26:27], v[183:184], s[16:17], -v[34:35]
	buffer_store_dword v4, off, s[44:47], 0 offset:272 ; 4-byte Folded Spill
	s_nop 0
	buffer_store_dword v5, off, s[44:47], 0 offset:276 ; 4-byte Folded Spill
	v_add_f64 v[30:31], v[248:249], v[30:31]
	v_mul_f64 v[248:249], v[173:174], s[26:27]
	v_mov_b32_e32 v4, v252
	v_add_f64 v[24:25], v[32:33], v[24:25]
	v_add_f64 v[246:247], v[244:245], v[0:1]
	v_fma_f64 v[0:1], v[155:156], s[34:35], v[238:239]
	v_mul_f64 v[238:239], v[165:166], s[40:41]
	v_mov_b32_e32 v5, v253
	v_mov_b32_e32 v6, v254
	;; [unrolled: 1-line block ×3, first 2 shown]
	v_fma_f64 v[252:253], v[151:152], s[22:23], v[248:249]
	v_add_f64 v[254:255], v[108:109], v[250:251]
	v_add_f64 v[244:245], v[26:27], v[30:31]
	v_mul_f64 v[26:27], v[153:154], s[26:27]
	v_add_f64 v[250:251], v[240:241], v[24:25]
	v_fma_f64 v[24:25], v[161:162], s[22:23], v[28:29]
	v_fma_f64 v[30:31], v[157:158], s[16:17], v[238:239]
	v_fma_f64 v[248:249], v[151:152], s[22:23], -v[248:249]
	v_add_f64 v[240:241], v[110:111], v[252:253]
	v_add_f64 v[0:1], v[0:1], v[254:255]
	v_mul_f64 v[252:253], v[159:160], s[40:41]
	v_fma_f64 v[254:255], v[149:150], s[22:23], -v[26:27]
	v_mul_f64 v[28:29], v[175:176], s[36:37]
	v_fma_f64 v[238:239], v[157:158], s[16:17], -v[238:239]
	v_fma_f64 v[229:230], v[169:170], s[14:15], v[229:230]
	v_add_f64 v[248:249], v[110:111], v[248:249]
	v_add_f64 v[30:31], v[30:31], v[240:241]
	;; [unrolled: 1-line block ×3, first 2 shown]
	v_mul_f64 v[24:25], v[167:168], s[36:37]
	v_fma_f64 v[240:241], v[155:156], s[16:17], -v[252:253]
	v_add_f64 v[254:255], v[108:109], v[254:255]
	buffer_store_dword v177, off, s[44:47], 0 offset:112 ; 4-byte Folded Spill
	buffer_store_dword v178, off, s[44:47], 0 offset:116 ; 4-byte Folded Spill
	v_fma_f64 v[177:178], v[163:164], s[34:35], v[28:29]
	v_fma_f64 v[28:29], v[163:164], s[34:35], -v[28:29]
	v_add_f64 v[238:239], v[238:239], v[248:249]
	v_fma_f64 v[34:35], v[183:184], s[16:17], v[34:35]
	v_fma_f64 v[234:235], v[161:162], s[34:35], -v[24:25]
	v_add_f64 v[0:1], v[229:230], v[0:1]
	v_add_f64 v[240:241], v[240:241], v[254:255]
	buffer_store_dword v186, off, s[44:47], 0 offset:124 ; 4-byte Folded Spill
	v_add_f64 v[30:31], v[177:178], v[30:31]
	v_mul_f64 v[177:178], v[179:180], s[30:31]
	v_add_f64 v[28:29], v[28:29], v[238:239]
	v_mov_b32_e32 v186, v242
	v_fma_f64 v[242:243], v[171:172], s[24:25], v[2:3]
	v_add_f64 v[248:249], v[34:35], v[0:1]
	v_add_f64 v[234:235], v[234:235], v[240:241]
	v_mov_b32_e32 v241, v15
	buffer_load_dword v0, off, s[44:47], 0 offset:256 ; 4-byte Folded Reload
	buffer_load_dword v1, off, s[44:47], 0 offset:260 ; 4-byte Folded Reload
	v_mov_b32_e32 v240, v14
	v_mov_b32_e32 v239, v13
	;; [unrolled: 1-line block ×3, first 2 shown]
	buffer_load_dword v12, off, s[44:47], 0 offset:232 ; 4-byte Folded Reload
	buffer_load_dword v13, off, s[44:47], 0 offset:236 ; 4-byte Folded Reload
	v_fma_f64 v[254:255], v[169:170], s[24:25], -v[177:178]
	v_fma_f64 v[229:230], v[181:182], s[14:15], v[236:237]
	v_add_f64 v[30:31], v[242:243], v[30:31]
	v_mul_f64 v[242:243], v[195:196], s[38:39]
	v_fma_f64 v[26:27], v[149:150], s[22:23], v[26:27]
	v_fma_f64 v[2:3], v[171:172], s[24:25], -v[2:3]
	v_mul_f64 v[32:33], v[197:198], s[26:27]
	v_fma_f64 v[24:25], v[161:162], s[34:35], v[24:25]
	v_add_f64 v[34:35], v[254:255], v[234:235]
	v_mul_f64 v[165:166], v[165:166], s[18:19]
	v_add_f64 v[26:27], v[108:109], v[26:27]
	v_add_f64 v[2:3], v[2:3], v[28:29]
	s_waitcnt vmcnt(2)
	v_add_f64 v[0:1], v[205:206], -v[0:1]
	v_add_f64 v[205:206], v[229:230], v[30:31]
	v_fma_f64 v[30:31], v[183:184], s[14:15], -v[242:243]
	v_fma_f64 v[229:230], v[181:182], s[14:15], -v[236:237]
	s_waitcnt vmcnt(0)
	v_add_f64 v[217:218], v[217:218], -v[12:13]
	buffer_load_dword v12, off, s[44:47], 0 offset:216 ; 4-byte Folded Reload
	buffer_load_dword v13, off, s[44:47], 0 offset:220 ; 4-byte Folded Reload
	v_fma_f64 v[236:237], v[155:156], s[16:17], v[252:253]
	v_add_f64 v[0:1], v[110:111], v[0:1]
	v_add_f64 v[26:27], v[236:237], v[26:27]
	;; [unrolled: 1-line block ×4, first 2 shown]
	v_add_f64 v[26:27], v[227:228], -v[32:33]
	s_waitcnt vmcnt(0)
	v_add_f64 v[234:235], v[12:13], v[203:204]
	buffer_load_dword v12, off, s[44:47], 0 offset:264 ; 4-byte Folded Reload
	buffer_load_dword v13, off, s[44:47], 0 offset:268 ; 4-byte Folded Reload
	v_add_f64 v[203:204], v[30:31], v[34:35]
	v_add_f64 v[34:35], v[108:109], v[234:235]
	v_mov_b32_e32 v237, v11
	v_mov_b32_e32 v236, v10
	;; [unrolled: 1-line block ×4, first 2 shown]
	s_waitcnt vmcnt(0)
	v_add_f64 v[28:29], v[219:220], -v[12:13]
	buffer_load_dword v12, off, s[44:47], 0 offset:200 ; 4-byte Folded Reload
	buffer_load_dword v13, off, s[44:47], 0 offset:204 ; 4-byte Folded Reload
	;; [unrolled: 1-line block ×4, first 2 shown]
	v_add_f64 v[0:1], v[28:29], v[0:1]
	s_waitcnt vmcnt(2)
	v_add_f64 v[30:31], v[12:13], v[211:212]
	v_add_f64 v[211:212], v[229:230], v[2:3]
	v_add_f64 v[2:3], v[225:226], -v[20:21]
	s_waitcnt vmcnt(0)
	v_add_f64 v[20:21], v[193:194], -v[8:9]
	buffer_load_dword v8, off, s[44:47], 0 offset:224 ; 4-byte Folded Reload
	buffer_load_dword v9, off, s[44:47], 0 offset:228 ; 4-byte Folded Reload
	v_mov_b32_e32 v230, v233
	v_mov_b32_e32 v233, v148
	;; [unrolled: 1-line block ×3, first 2 shown]
	v_add_f64 v[30:31], v[30:31], v[34:35]
	v_fma_f64 v[34:35], v[169:170], s[24:25], v[177:178]
	v_add_f64 v[0:1], v[2:3], v[0:1]
	v_add_f64 v[20:21], v[110:111], v[20:21]
	v_mov_b32_e32 v229, v232
	v_add_f64 v[24:25], v[34:35], v[24:25]
	s_waitcnt vmcnt(0)
	v_add_f64 v[28:29], v[8:9], v[213:214]
	buffer_load_dword v8, off, s[44:47], 0 offset:184 ; 4-byte Folded Reload
	buffer_load_dword v9, off, s[44:47], 0 offset:188 ; 4-byte Folded Reload
	;; [unrolled: 1-line block ×4, first 2 shown]
	v_add_f64 v[28:29], v[28:29], v[30:31]
	v_fma_f64 v[30:31], v[183:184], s[14:15], v[242:243]
	v_mov_b32_e32 v242, v186
	v_add_f64 v[185:186], v[26:27], v[0:1]
	v_mov_b32_e32 v243, v22
	s_waitcnt vmcnt(2)
	v_add_f64 v[32:33], v[201:202], -v[8:9]
	buffer_load_dword v8, off, s[44:47], 0 offset:176 ; 4-byte Folded Reload
	buffer_load_dword v9, off, s[44:47], 0 offset:180 ; 4-byte Folded Reload
	s_waitcnt vmcnt(2)
	v_add_f64 v[2:3], v[2:3], v[221:222]
	v_add_f64 v[20:21], v[32:33], v[20:21]
	;; [unrolled: 1-line block ×3, first 2 shown]
	v_mul_f64 v[2:3], v[173:174], s[36:37]
	v_fma_f64 v[173:174], v[151:152], s[34:35], v[2:3]
	v_fma_f64 v[2:3], v[151:152], s[34:35], -v[2:3]
	v_mul_f64 v[151:152], v[159:160], s[18:19]
	v_add_f64 v[2:3], v[110:111], v[2:3]
	s_waitcnt vmcnt(0)
	v_add_f64 v[34:35], v[207:208], -v[8:9]
	buffer_load_dword v8, off, s[44:47], 0 offset:168 ; 4-byte Folded Reload
	buffer_load_dword v9, off, s[44:47], 0 offset:172 ; 4-byte Folded Reload
	;; [unrolled: 1-line block ×4, first 2 shown]
	v_add_f64 v[20:21], v[34:35], v[20:21]
	s_waitcnt vmcnt(2)
	v_add_f64 v[177:178], v[8:9], v[16:17]
	s_waitcnt vmcnt(0)
	v_add_f64 v[22:23], v[0:1], v[223:224]
	buffer_load_dword v0, off, s[44:47], 0 offset:208 ; 4-byte Folded Reload
	buffer_load_dword v1, off, s[44:47], 0 offset:212 ; 4-byte Folded Reload
	;; [unrolled: 1-line block ×4, first 2 shown]
	v_add_f64 v[32:33], v[108:109], v[177:178]
	s_waitcnt vmcnt(2)
	v_add_f64 v[0:1], v[209:210], -v[0:1]
	s_waitcnt vmcnt(0)
	v_add_f64 v[28:29], v[8:9], v[191:192]
	buffer_load_dword v8, off, s[44:47], 0 offset:248 ; 4-byte Folded Reload
	buffer_load_dword v9, off, s[44:47], 0 offset:252 ; 4-byte Folded Reload
	v_add_f64 v[209:210], v[30:31], v[24:25]
	v_add_f64 v[0:1], v[0:1], v[20:21]
	;; [unrolled: 1-line block ×6, first 2 shown]
	v_mul_f64 v[20:21], v[175:176], s[20:21]
	v_fma_f64 v[120:121], v[157:158], s[14:15], v[165:166]
	v_fma_f64 v[110:111], v[155:156], s[14:15], v[151:152]
	v_add_f64 v[32:33], v[114:115], v[32:33]
	v_add_f64 v[114:115], v[120:121], v[122:123]
	v_mul_f64 v[120:121], v[197:198], s[30:31]
	v_add_f64 v[32:33], v[138:139], v[32:33]
	v_mul_f64 v[138:139], v[179:180], s[26:27]
	;; [unrolled: 2-line block ×3, first 2 shown]
	v_add_f64 v[32:33], v[130:131], v[32:33]
	v_fma_f64 v[130:131], v[155:156], s[14:15], -v[151:152]
	v_add_f64 v[32:33], v[126:127], v[32:33]
	v_add_f64 v[32:33], v[102:103], v[32:33]
	v_fma_f64 v[102:103], v[169:170], s[22:23], -v[138:139]
	s_waitcnt vmcnt(0)
	v_add_f64 v[34:35], v[215:216], -v[8:9]
	buffer_load_dword v8, off, s[44:47], 0 offset:128 ; 4-byte Folded Reload
	buffer_load_dword v9, off, s[44:47], 0 offset:132 ; 4-byte Folded Reload
	;; [unrolled: 1-line block ×4, first 2 shown]
	v_add_f64 v[116:117], v[34:35], v[0:1]
	v_add_f64 v[34:35], v[112:113], v[118:119]
	v_mul_f64 v[0:1], v[187:188], s[26:27]
	v_fma_f64 v[112:113], v[163:164], s[16:17], v[20:21]
	v_fma_f64 v[20:21], v[163:164], s[16:17], -v[20:21]
	v_add_f64 v[34:35], v[136:137], v[34:35]
	v_mul_f64 v[136:137], v[153:154], s[36:37]
	v_fma_f64 v[122:123], v[171:172], s[22:23], v[0:1]
	v_fma_f64 v[0:1], v[171:172], s[22:23], -v[0:1]
	v_add_f64 v[112:113], v[112:113], v[114:115]
	v_mul_f64 v[114:115], v[195:196], s[30:31]
	v_add_f64 v[34:35], v[132:133], v[34:35]
	v_fma_f64 v[132:133], v[149:150], s[34:35], v[136:137]
	v_fma_f64 v[136:137], v[149:150], s[34:35], -v[136:137]
	v_fma_f64 v[149:150], v[157:158], s[14:15], -v[165:166]
	v_add_f64 v[34:35], v[128:129], v[34:35]
	v_add_f64 v[128:129], v[108:109], v[132:133]
	;; [unrolled: 1-line block ×4, first 2 shown]
	v_fma_f64 v[132:133], v[161:162], s[16:17], v[134:135]
	v_add_f64 v[34:35], v[124:125], v[34:35]
	v_add_f64 v[110:111], v[110:111], v[128:129]
	v_fma_f64 v[124:125], v[161:162], s[16:17], -v[134:135]
	v_add_f64 v[108:109], v[130:131], v[108:109]
	v_add_f64 v[2:3], v[20:21], v[2:3]
	v_fma_f64 v[20:21], v[169:170], s[22:23], v[138:139]
	v_add_f64 v[34:35], v[100:101], v[34:35]
	v_add_f64 v[100:101], v[132:133], v[110:111]
	v_fma_f64 v[110:111], v[181:182], s[24:25], -v[120:121]
	v_add_f64 v[108:109], v[124:125], v[108:109]
	v_add_f64 v[0:1], v[0:1], v[2:3]
	;; [unrolled: 1-line block ×3, first 2 shown]
	v_fma_f64 v[124:125], v[183:184], s[24:25], v[114:115]
	v_add_f64 v[32:33], v[104:105], v[34:35]
	v_add_f64 v[20:21], v[20:21], v[100:101]
	;; [unrolled: 1-line block ×6, first 2 shown]
	v_fma_f64 v[112:113], v[183:184], s[24:25], -v[114:115]
	v_add_f64 v[183:184], v[22:23], v[26:27]
	v_add_f64 v[0:1], v[4:5], v[32:33]
	;; [unrolled: 1-line block ×3, first 2 shown]
	v_lshlrev_b32_e32 v20, 4, v18
	v_fma_f64 v[34:35], v[181:182], s[24:25], v[120:121]
	v_add_f64 v[106:107], v[34:35], v[104:105]
	v_add_f64 v[104:105], v[112:113], v[108:109]
	s_waitcnt vmcnt(0)
	v_add_f64 v[177:178], v[8:9], v[10:11]
	buffer_load_dword v8, off, s[44:47], 0 offset:136 ; 4-byte Folded Reload
	buffer_load_dword v9, off, s[44:47], 0 offset:140 ; 4-byte Folded Reload
	v_add_f64 v[28:29], v[177:178], v[28:29]
	buffer_load_dword v178, off, s[44:47], 0 offset:116 ; 4-byte Folded Reload
	buffer_load_dword v177, off, s[44:47], 0 offset:112 ; 4-byte Folded Reload
	s_waitcnt vmcnt(2)
	v_add_f64 v[173:174], v[8:9], v[189:190]
	buffer_load_dword v8, off, s[44:47], 0 offset:144 ; 4-byte Folded Reload
	buffer_load_dword v9, off, s[44:47], 0 offset:148 ; 4-byte Folded Reload
	v_add_f64 v[28:29], v[173:174], v[28:29]
	s_waitcnt vmcnt(0)
	v_add_f64 v[118:119], v[8:9], v[199:200]
	v_add_f64 v[114:115], v[118:119], v[28:29]
	ds_write_b128 v20, v[0:3]
	ds_write_b128 v20, v[100:103] offset:16
	ds_write_b128 v20, v[114:117] offset:32
	;; [unrolled: 1-line block ×3, first 2 shown]
	buffer_load_dword v186, off, s[44:47], 0 offset:124 ; 4-byte Folded Reload
	buffer_load_dword v185, off, s[44:47], 0 offset:120 ; 4-byte Folded Reload
	ds_write_b128 v20, v[209:212] offset:64
	ds_write_b128 v20, v[248:251] offset:80
	;; [unrolled: 1-line block ×7, first 2 shown]
.LBB0_21:
	s_or_b64 exec, exec, s[28:29]
	s_waitcnt vmcnt(0) lgkmcnt(0)
	s_barrier
	ds_read_b128 v[0:3], v231
	ds_read_b128 v[100:103], v231 offset:2640
	ds_read_b128 v[104:107], v231 offset:10560
	;; [unrolled: 1-line block ×7, first 2 shown]
	buffer_load_dword v12, off, s[44:47], 0 ; 4-byte Folded Reload
	buffer_load_dword v13, off, s[44:47], 0 offset:4 ; 4-byte Folded Reload
	buffer_load_dword v14, off, s[44:47], 0 offset:8 ; 4-byte Folded Reload
	;; [unrolled: 1-line block ×7, first 2 shown]
	s_waitcnt lgkmcnt(5)
	v_mul_f64 v[20:21], v[240:241], v[106:107]
	v_mul_f64 v[10:11], v[240:241], v[104:105]
	s_waitcnt lgkmcnt(4)
	v_mul_f64 v[22:23], v[236:237], v[110:111]
	v_mul_f64 v[6:7], v[236:237], v[108:109]
	s_waitcnt vmcnt(0) lgkmcnt(0)
	s_barrier
	v_fma_f64 v[20:21], v[238:239], v[104:105], v[20:21]
	v_fma_f64 v[8:9], v[238:239], v[106:107], -v[10:11]
	v_fma_f64 v[10:11], v[234:235], v[108:109], v[22:23]
	v_fma_f64 v[4:5], v[234:235], v[110:111], -v[6:7]
	v_add_f64 v[6:7], v[0:1], -v[20:21]
	v_add_f64 v[8:9], v[2:3], -v[8:9]
	v_fma_f64 v[108:109], v[0:1], 2.0, -v[6:7]
	v_fma_f64 v[110:111], v[2:3], 2.0, -v[8:9]
	v_mul_f64 v[24:25], v[14:15], v[122:123]
	v_mul_f64 v[14:15], v[14:15], v[120:121]
	;; [unrolled: 1-line block ×4, first 2 shown]
	v_fma_f64 v[22:23], v[12:13], v[120:121], v[24:25]
	v_fma_f64 v[12:13], v[12:13], v[122:123], -v[14:15]
	v_fma_f64 v[24:25], v[16:17], v[124:125], v[26:27]
	v_fma_f64 v[18:19], v[16:17], v[126:127], -v[18:19]
	v_add_f64 v[14:15], v[100:101], -v[10:11]
	v_add_f64 v[16:17], v[102:103], -v[4:5]
	v_add_f64 v[104:105], v[112:113], -v[22:23]
	v_add_f64 v[106:107], v[114:115], -v[12:13]
	v_add_f64 v[10:11], v[116:117], -v[24:25]
	v_add_f64 v[12:13], v[118:119], -v[18:19]
	v_fma_f64 v[100:101], v[100:101], 2.0, -v[14:15]
	v_fma_f64 v[102:103], v[102:103], 2.0, -v[16:17]
	ds_write_b128 v243, v[108:111]
	ds_write_b128 v243, v[6:9] offset:176
	ds_write_b128 v186, v[100:103]
	ds_write_b128 v186, v[14:17] offset:176
	buffer_load_dword v0, off, s[44:47], 0 offset:16 ; 4-byte Folded Reload
	v_fma_f64 v[112:113], v[112:113], 2.0, -v[104:105]
	v_fma_f64 v[114:115], v[114:115], 2.0, -v[106:107]
	;; [unrolled: 1-line block ×4, first 2 shown]
	s_waitcnt vmcnt(0)
	ds_write_b128 v0, v[112:115]
	ds_write_b128 v0, v[104:107] offset:176
	ds_write_b128 v242, v[2:5]
	ds_write_b128 v242, v[10:13] offset:176
	s_waitcnt lgkmcnt(0)
	s_barrier
	ds_read_b128 v[14:17], v231
	ds_read_b128 v[6:9], v231 offset:2640
	ds_read_b128 v[108:111], v231 offset:7040
	;; [unrolled: 1-line block ×5, first 2 shown]
	s_and_saveexec_b64 s[14:15], s[2:3]
	s_cbranch_execz .LBB0_23
; %bb.22:
	ds_read_b128 v[2:5], v231 offset:5280
	ds_read_b128 v[10:13], v231 offset:12320
	ds_read_b128 v[144:147], v231 offset:19360
.LBB0_23:
	s_or_b64 exec, exec, s[14:15]
	s_waitcnt lgkmcnt(3)
	v_mul_f64 v[0:1], v[58:59], v[110:111]
	s_waitcnt lgkmcnt(1)
	v_mul_f64 v[18:19], v[54:55], v[114:115]
	v_mul_f64 v[20:21], v[58:59], v[108:109]
	;; [unrolled: 1-line block ×5, first 2 shown]
	s_waitcnt lgkmcnt(0)
	v_mul_f64 v[28:29], v[38:39], v[106:107]
	v_mul_f64 v[30:31], v[38:39], v[104:105]
	v_fma_f64 v[0:1], v[56:57], v[108:109], v[0:1]
	v_fma_f64 v[18:19], v[52:53], v[112:113], v[18:19]
	v_mul_f64 v[32:33], v[50:51], v[12:13]
	v_mul_f64 v[34:35], v[50:51], v[10:11]
	;; [unrolled: 1-line block ×4, first 2 shown]
	v_fma_f64 v[20:21], v[56:57], v[110:111], -v[20:21]
	v_fma_f64 v[22:23], v[52:53], v[114:115], -v[22:23]
	v_fma_f64 v[24:25], v[40:41], v[100:101], v[24:25]
	v_add_f64 v[46:47], v[0:1], v[18:19]
	v_fma_f64 v[26:27], v[40:41], v[102:103], -v[26:27]
	v_fma_f64 v[28:29], v[36:37], v[104:105], v[28:29]
	v_fma_f64 v[30:31], v[36:37], v[106:107], -v[30:31]
	v_add_f64 v[36:37], v[14:15], v[0:1]
	v_fma_f64 v[10:11], v[48:49], v[10:11], v[32:33]
	v_fma_f64 v[12:13], v[48:49], v[12:13], -v[34:35]
	v_add_f64 v[32:33], v[20:21], -v[22:23]
	v_fma_f64 v[14:15], v[46:47], -0.5, v[14:15]
	v_fma_f64 v[34:35], v[44:45], v[144:145], v[38:39]
	v_add_f64 v[38:39], v[20:21], v[22:23]
	v_add_f64 v[20:21], v[16:17], v[20:21]
	s_mov_b32 s14, 0xe8584caa
	s_mov_b32 s15, 0xbfebb67a
	;; [unrolled: 1-line block ×4, first 2 shown]
	v_fma_f64 v[52:53], v[44:45], v[146:147], -v[42:43]
	v_add_f64 v[42:43], v[24:25], v[28:29]
	v_fma_f64 v[40:41], v[32:33], s[14:15], v[14:15]
	v_fma_f64 v[44:45], v[38:39], -0.5, v[16:17]
	v_fma_f64 v[16:17], v[32:33], s[16:17], v[14:15]
	v_add_f64 v[38:39], v[20:21], v[22:23]
	v_add_f64 v[14:15], v[26:27], v[30:31]
	;; [unrolled: 1-line block ×3, first 2 shown]
	v_add_f64 v[0:1], v[0:1], -v[18:19]
	v_add_f64 v[46:47], v[6:7], v[24:25]
	v_fma_f64 v[6:7], v[42:43], -0.5, v[6:7]
	v_add_f64 v[50:51], v[26:27], -v[30:31]
	v_add_f64 v[22:23], v[8:9], v[26:27]
	v_add_f64 v[26:27], v[12:13], -v[52:53]
	v_fma_f64 v[8:9], v[14:15], -0.5, v[8:9]
	v_add_f64 v[14:15], v[24:25], -v[28:29]
	v_fma_f64 v[20:21], v[20:21], -0.5, v[2:3]
	v_add_f64 v[36:37], v[36:37], v[18:19]
	v_fma_f64 v[42:43], v[0:1], s[16:17], v[44:45]
	v_fma_f64 v[18:19], v[0:1], s[14:15], v[44:45]
	v_add_f64 v[44:45], v[46:47], v[28:29]
	v_fma_f64 v[48:49], v[50:51], s[14:15], v[6:7]
	v_fma_f64 v[0:1], v[50:51], s[16:17], v[6:7]
	v_add_f64 v[6:7], v[12:13], v[52:53]
	v_add_f64 v[24:25], v[10:11], v[2:3]
	;; [unrolled: 1-line block ×3, first 2 shown]
	v_fma_f64 v[50:51], v[14:15], s[16:17], v[8:9]
	v_fma_f64 v[2:3], v[14:15], s[14:15], v[8:9]
	;; [unrolled: 1-line block ×4, first 2 shown]
	s_barrier
	buffer_load_dword v20, off, s[44:47], 0 offset:24 ; 4-byte Folded Reload
	v_fma_f64 v[32:33], v[6:7], -0.5, v[4:5]
	v_add_f64 v[54:55], v[10:11], -v[34:35]
	v_add_f64 v[46:47], v[22:23], v[30:31]
	v_add_f64 v[4:5], v[24:25], v[34:35]
	v_add_f64 v[6:7], v[52:53], v[28:29]
	s_waitcnt vmcnt(0)
	ds_write_b128 v20, v[36:39]
	ds_write_b128 v20, v[40:43] offset:352
	ds_write_b128 v20, v[16:19] offset:704
	buffer_load_dword v16, off, s[44:47], 0 offset:20 ; 4-byte Folded Reload
	v_fma_f64 v[10:11], v[54:55], s[16:17], v[32:33]
	v_fma_f64 v[14:15], v[54:55], s[14:15], v[32:33]
	s_waitcnt vmcnt(0)
	ds_write_b128 v16, v[44:47]
	ds_write_b128 v16, v[48:51] offset:352
	ds_write_b128 v16, v[0:3] offset:704
	s_and_saveexec_b64 s[14:15], s[2:3]
	s_cbranch_execz .LBB0_25
; %bb.24:
	s_movk_i32 s2, 0x42
	v_mad_legacy_u16 v16, v233, s2, v185
	v_lshlrev_b32_e32 v16, 4, v16
	ds_write_b128 v16, v[4:7]
	ds_write_b128 v16, v[8:11] offset:352
	ds_write_b128 v16, v[12:15] offset:704
.LBB0_25:
	s_or_b64 exec, exec, s[14:15]
	s_waitcnt lgkmcnt(0)
	s_barrier
	ds_read_b128 v[16:19], v231
	ds_read_b128 v[48:51], v231 offset:4224
	ds_read_b128 v[36:39], v231 offset:8448
	;; [unrolled: 1-line block ×4, first 2 shown]
	s_and_saveexec_b64 s[2:3], s[4:5]
	s_cbranch_execz .LBB0_27
; %bb.26:
	ds_read_b128 v[0:3], v231 offset:2640
	ds_read_b128 v[4:7], v231 offset:6864
	;; [unrolled: 1-line block ×5, first 2 shown]
.LBB0_27:
	s_or_b64 exec, exec, s[2:3]
	s_waitcnt lgkmcnt(2)
	v_mul_f64 v[20:21], v[70:71], v[38:39]
	s_waitcnt lgkmcnt(1)
	v_mul_f64 v[22:23], v[66:67], v[42:43]
	v_mul_f64 v[24:25], v[74:75], v[50:51]
	;; [unrolled: 1-line block ×3, first 2 shown]
	s_waitcnt lgkmcnt(0)
	v_mul_f64 v[30:31], v[62:63], v[44:45]
	v_mul_f64 v[28:29], v[70:71], v[36:37]
	;; [unrolled: 1-line block ×4, first 2 shown]
	v_fma_f64 v[20:21], v[68:69], v[36:37], v[20:21]
	v_fma_f64 v[22:23], v[64:65], v[40:41], v[22:23]
	;; [unrolled: 1-line block ×3, first 2 shown]
	v_fma_f64 v[26:27], v[72:73], v[50:51], -v[26:27]
	v_fma_f64 v[30:31], v[60:61], v[46:47], -v[30:31]
	;; [unrolled: 1-line block ×4, first 2 shown]
	v_fma_f64 v[34:35], v[60:61], v[44:45], v[34:35]
	s_mov_b32 s2, 0x134454ff
	v_add_f64 v[36:37], v[20:21], v[22:23]
	v_add_f64 v[38:39], v[16:17], v[24:25]
	s_mov_b32 s3, 0xbfee6f0e
	v_add_f64 v[40:41], v[26:27], -v[30:31]
	v_add_f64 v[44:45], v[24:25], -v[20:21]
	;; [unrolled: 1-line block ×4, first 2 shown]
	v_add_f64 v[48:49], v[24:25], v[34:35]
	v_fma_f64 v[36:37], v[36:37], -0.5, v[16:17]
	v_add_f64 v[38:39], v[38:39], v[20:21]
	s_mov_b32 s14, 0x4755a5e
	s_mov_b32 s15, 0xbfe2cf23
	;; [unrolled: 1-line block ×4, first 2 shown]
	v_add_f64 v[44:45], v[44:45], v[46:47]
	v_fma_f64 v[46:47], v[48:49], -0.5, v[16:17]
	v_fma_f64 v[50:51], v[40:41], s[2:3], v[36:37]
	v_add_f64 v[16:17], v[38:39], v[22:23]
	v_add_f64 v[48:49], v[28:29], v[32:33]
	s_mov_b32 s19, 0x3fee6f0e
	s_mov_b32 s18, s2
	v_add_f64 v[52:53], v[20:21], -v[24:25]
	v_fma_f64 v[54:55], v[40:41], s[18:19], v[36:37]
	v_add_f64 v[56:57], v[18:19], v[26:27]
	v_fma_f64 v[38:39], v[42:43], s[14:15], v[50:51]
	v_add_f64 v[50:51], v[22:23], -v[34:35]
	v_add_f64 v[58:59], v[26:27], v[30:31]
	v_add_f64 v[24:25], v[24:25], -v[34:35]
	s_mov_b32 s21, 0x3fe2cf23
	s_mov_b32 s20, s14
	v_fma_f64 v[60:61], v[42:43], s[18:19], v[46:47]
	v_add_f64 v[16:17], v[16:17], v[34:35]
	v_fma_f64 v[36:37], v[44:45], s[16:17], v[38:39]
	v_fma_f64 v[38:39], v[48:49], -0.5, v[18:19]
	v_fma_f64 v[34:35], v[42:43], s[20:21], v[54:55]
	v_add_f64 v[20:21], v[20:21], -v[22:23]
	v_fma_f64 v[18:19], v[58:59], -0.5, v[18:19]
	v_add_f64 v[48:49], v[52:53], v[50:51]
	v_fma_f64 v[42:43], v[42:43], s[2:3], v[46:47]
	v_add_f64 v[46:47], v[56:57], v[28:29]
	v_add_f64 v[52:53], v[26:27], -v[28:29]
	v_fma_f64 v[50:51], v[24:25], s[18:19], v[38:39]
	v_add_f64 v[54:55], v[30:31], -v[32:33]
	v_fma_f64 v[38:39], v[24:25], s[2:3], v[38:39]
	v_fma_f64 v[22:23], v[40:41], s[14:15], v[60:61]
	;; [unrolled: 1-line block ×3, first 2 shown]
	v_add_f64 v[26:27], v[28:29], -v[26:27]
	v_add_f64 v[28:29], v[32:33], -v[30:31]
	v_fma_f64 v[18:19], v[20:21], s[18:19], v[18:19]
	v_fma_f64 v[42:43], v[40:41], s[20:21], v[42:43]
	v_add_f64 v[32:33], v[46:47], v[32:33]
	v_fma_f64 v[46:47], v[20:21], s[20:21], v[50:51]
	v_add_f64 v[52:53], v[52:53], v[54:55]
	v_fma_f64 v[20:21], v[20:21], s[14:15], v[38:39]
	v_fma_f64 v[40:41], v[44:45], s[16:17], v[34:35]
	;; [unrolled: 1-line block ×4, first 2 shown]
	s_barrier
	v_fma_f64 v[50:51], v[24:25], s[20:21], v[56:57]
	v_fma_f64 v[42:43], v[52:53], s[16:17], v[20:21]
	buffer_load_dword v20, off, s[44:47], 0 offset:28 ; 4-byte Folded Reload
	v_add_f64 v[26:27], v[26:27], v[28:29]
	v_fma_f64 v[24:25], v[24:25], s[14:15], v[18:19]
	v_add_f64 v[18:19], v[32:33], v[30:31]
	v_fma_f64 v[38:39], v[52:53], s[16:17], v[46:47]
	v_fma_f64 v[46:47], v[26:27], s[16:17], v[50:51]
	;; [unrolled: 1-line block ×3, first 2 shown]
	s_waitcnt vmcnt(0)
	ds_write_b128 v20, v[16:19]
	ds_write_b128 v20, v[36:39] offset:1056
	ds_write_b128 v20, v[44:47] offset:2112
	;; [unrolled: 1-line block ×4, first 2 shown]
	s_and_saveexec_b64 s[22:23], s[4:5]
	s_cbranch_execz .LBB0_29
; %bb.28:
	buffer_load_dword v32, off, s[44:47], 0 offset:48 ; 4-byte Folded Reload
	buffer_load_dword v33, off, s[44:47], 0 offset:52 ; 4-byte Folded Reload
	;; [unrolled: 1-line block ×16, first 2 shown]
	s_waitcnt vmcnt(12)
	v_mul_f64 v[16:17], v[34:35], v[8:9]
	s_waitcnt vmcnt(8)
	v_mul_f64 v[18:19], v[38:39], v[4:5]
	;; [unrolled: 2-line block ×4, first 2 shown]
	v_mul_f64 v[24:25], v[34:35], v[10:11]
	v_mul_f64 v[26:27], v[46:47], v[14:15]
	;; [unrolled: 1-line block ×4, first 2 shown]
	v_fma_f64 v[10:11], v[32:33], v[10:11], -v[16:17]
	v_fma_f64 v[6:7], v[36:37], v[6:7], -v[18:19]
	;; [unrolled: 1-line block ×4, first 2 shown]
	v_fma_f64 v[8:9], v[32:33], v[8:9], v[24:25]
	v_fma_f64 v[12:13], v[44:45], v[12:13], v[26:27]
	;; [unrolled: 1-line block ×4, first 2 shown]
	v_add_f64 v[22:23], v[10:11], -v[6:7]
	v_add_f64 v[18:19], v[16:17], v[6:7]
	v_add_f64 v[30:31], v[10:11], v[14:15]
	v_add_f64 v[24:25], v[14:15], -v[16:17]
	v_add_f64 v[26:27], v[8:9], -v[12:13]
	v_add_f64 v[36:37], v[6:7], v[2:3]
	v_add_f64 v[28:29], v[4:5], -v[20:21]
	v_add_f64 v[32:33], v[6:7], -v[10:11]
	;; [unrolled: 1-line block ×3, first 2 shown]
	v_fma_f64 v[18:19], v[18:19], -0.5, v[2:3]
	v_fma_f64 v[2:3], v[30:31], -0.5, v[2:3]
	v_add_f64 v[42:43], v[6:7], -v[16:17]
	v_add_f64 v[6:7], v[20:21], v[4:5]
	v_add_f64 v[46:47], v[8:9], v[12:13]
	;; [unrolled: 1-line block ×4, first 2 shown]
	v_add_f64 v[44:45], v[10:11], -v[14:15]
	v_fma_f64 v[30:31], v[26:27], s[18:19], v[18:19]
	v_fma_f64 v[18:19], v[26:27], s[2:3], v[18:19]
	;; [unrolled: 1-line block ×4, first 2 shown]
	v_add_f64 v[38:39], v[8:9], -v[4:5]
	v_add_f64 v[40:41], v[12:13], -v[20:21]
	v_add_f64 v[10:11], v[10:11], v[36:37]
	v_add_f64 v[4:5], v[4:5], -v[8:9]
	v_fma_f64 v[30:31], v[28:29], s[14:15], v[30:31]
	v_fma_f64 v[18:19], v[28:29], s[20:21], v[18:19]
	v_add_f64 v[28:29], v[34:35], v[32:33]
	v_fma_f64 v[32:33], v[6:7], -0.5, v[0:1]
	v_fma_f64 v[0:1], v[46:47], -0.5, v[0:1]
	v_add_f64 v[8:9], v[8:9], v[48:49]
	v_fma_f64 v[24:25], v[26:27], s[14:15], v[24:25]
	v_fma_f64 v[26:27], v[26:27], s[20:21], v[2:3]
	;; [unrolled: 1-line block ×4, first 2 shown]
	v_add_f64 v[18:19], v[20:21], -v[12:13]
	v_fma_f64 v[30:31], v[44:45], s[18:19], v[32:33]
	v_fma_f64 v[22:23], v[42:43], s[2:3], v[0:1]
	;; [unrolled: 1-line block ×4, first 2 shown]
	v_add_f64 v[34:35], v[14:15], v[10:11]
	v_add_f64 v[36:37], v[40:41], v[38:39]
	v_fma_f64 v[14:15], v[28:29], s[16:17], v[26:27]
	v_add_f64 v[38:39], v[18:19], v[4:5]
	v_add_f64 v[4:5], v[12:13], v[8:9]
	v_fma_f64 v[8:9], v[44:45], s[14:15], v[22:23]
	v_fma_f64 v[22:23], v[42:43], s[14:15], v[30:31]
	;; [unrolled: 1-line block ×4, first 2 shown]
	v_add_f64 v[18:19], v[16:17], v[34:35]
	v_fma_f64 v[10:11], v[28:29], s[16:17], v[24:25]
	s_movk_i32 s2, 0x14a
	v_add_f64 v[16:17], v[20:21], v[4:5]
	v_fma_f64 v[12:13], v[38:39], s[16:17], v[8:9]
	v_fma_f64 v[4:5], v[36:37], s[16:17], v[22:23]
	v_fma_f64 v[0:1], v[36:37], s[16:17], v[30:31]
	v_fma_f64 v[8:9], v[38:39], s[16:17], v[32:33]
	v_mad_legacy_u16 v20, v177, s2, v178
	v_lshlrev_b32_e32 v20, 4, v20
	ds_write_b128 v20, v[16:19]
	ds_write_b128 v20, v[12:15] offset:1056
	ds_write_b128 v20, v[4:7] offset:2112
	ds_write_b128 v20, v[0:3] offset:3168
	ds_write_b128 v20, v[8:11] offset:4224
.LBB0_29:
	s_or_b64 exec, exec, s[22:23]
	s_waitcnt lgkmcnt(0)
	s_barrier
	ds_read_b128 v[0:3], v231 offset:5280
	ds_read_b128 v[4:7], v231 offset:10560
	;; [unrolled: 1-line block ×4, first 2 shown]
	ds_read_b128 v[16:19], v231
	ds_read_b128 v[20:23], v231 offset:2640
	ds_read_b128 v[24:27], v231 offset:15840
	;; [unrolled: 1-line block ×3, first 2 shown]
	s_waitcnt lgkmcnt(7)
	v_mul_f64 v[32:33], v[82:83], v[2:3]
	v_mul_f64 v[34:35], v[82:83], v[0:1]
	s_waitcnt lgkmcnt(6)
	v_mul_f64 v[36:37], v[86:87], v[6:7]
	v_mul_f64 v[38:39], v[86:87], v[4:5]
	;; [unrolled: 3-line block ×4, first 2 shown]
	v_fma_f64 v[0:1], v[80:81], v[0:1], v[32:33]
	v_fma_f64 v[2:3], v[80:81], v[2:3], -v[34:35]
	v_mul_f64 v[32:33], v[78:79], v[26:27]
	v_mul_f64 v[34:35], v[78:79], v[24:25]
	v_fma_f64 v[4:5], v[84:85], v[4:5], v[36:37]
	v_fma_f64 v[6:7], v[84:85], v[6:7], -v[38:39]
	v_mul_f64 v[36:37], v[90:91], v[10:11]
	v_mul_f64 v[38:39], v[90:91], v[8:9]
	v_fma_f64 v[12:13], v[96:97], v[12:13], v[40:41]
	v_fma_f64 v[14:15], v[96:97], v[14:15], -v[42:43]
	v_fma_f64 v[24:25], v[76:77], v[24:25], v[32:33]
	v_fma_f64 v[26:27], v[76:77], v[26:27], -v[34:35]
	;; [unrolled: 2-line block ×4, first 2 shown]
	v_add_f64 v[32:33], v[16:17], -v[4:5]
	v_add_f64 v[34:35], v[18:19], -v[6:7]
	v_add_f64 v[6:7], v[0:1], -v[24:25]
	v_add_f64 v[4:5], v[2:3], -v[26:27]
	v_add_f64 v[36:37], v[20:21], -v[12:13]
	v_add_f64 v[38:39], v[22:23], -v[14:15]
	v_add_f64 v[14:15], v[8:9], -v[28:29]
	v_add_f64 v[12:13], v[10:11], -v[30:31]
	v_fma_f64 v[16:17], v[16:17], 2.0, -v[32:33]
	v_fma_f64 v[18:19], v[18:19], 2.0, -v[34:35]
	;; [unrolled: 1-line block ×8, first 2 shown]
	v_add_f64 v[4:5], v[32:33], v[4:5]
	v_add_f64 v[6:7], v[34:35], -v[6:7]
	v_add_f64 v[0:1], v[16:17], -v[0:1]
	;; [unrolled: 1-line block ×3, first 2 shown]
	v_add_f64 v[12:13], v[36:37], v[12:13]
	v_add_f64 v[14:15], v[38:39], -v[14:15]
	v_add_f64 v[8:9], v[24:25], -v[8:9]
	v_add_f64 v[10:11], v[26:27], -v[10:11]
	v_fma_f64 v[20:21], v[32:33], 2.0, -v[4:5]
	v_fma_f64 v[22:23], v[34:35], 2.0, -v[6:7]
	;; [unrolled: 1-line block ×8, first 2 shown]
	ds_write_b128 v231, v[16:19]
	ds_write_b128 v231, v[20:23] offset:5280
	ds_write_b128 v231, v[0:3] offset:10560
	;; [unrolled: 1-line block ×7, first 2 shown]
	s_waitcnt lgkmcnt(0)
	s_barrier
	s_and_b64 exec, exec, s[0:1]
	s_cbranch_execz .LBB0_31
; %bb.30:
	global_load_dwordx4 v[0:3], v148, s[12:13]
	global_load_dwordx4 v[4:7], v148, s[12:13] offset:1920
	global_load_dwordx4 v[8:11], v148, s[12:13] offset:3840
	v_mov_b32_e32 v12, s13
	v_add_co_u32_e32 v48, vcc, s12, v148
	s_movk_i32 s0, 0x1000
	v_addc_co_u32_e32 v49, vcc, 0, v12, vcc
	v_add_co_u32_e32 v20, vcc, s0, v48
	v_addc_co_u32_e32 v21, vcc, 0, v49, vcc
	global_load_dwordx4 v[12:15], v[20:21], off offset:1664
	global_load_dwordx4 v[16:19], v[20:21], off offset:3584
	s_movk_i32 s5, 0x2000
	v_add_co_u32_e32 v44, vcc, s5, v48
	v_addc_co_u32_e32 v45, vcc, 0, v49, vcc
	ds_read_b128 v[20:23], v231
	ds_read_b128 v[24:27], v148 offset:1920
	ds_read_b128 v[28:31], v148 offset:3840
	global_load_dwordx4 v[32:35], v[44:45], off offset:1408
	ds_read_b128 v[36:39], v148 offset:5760
	ds_read_b128 v[40:43], v148 offset:7680
	global_load_dwordx4 v[44:47], v[44:45], off offset:3328
	s_movk_i32 s5, 0x3000
	v_add_co_u32_e32 v56, vcc, s5, v48
	v_mov_b32_e32 v73, s7
	s_movk_i32 s7, 0x4000
	v_addc_co_u32_e32 v57, vcc, 0, v49, vcc
	v_add_co_u32_e32 v68, vcc, s7, v48
	v_addc_co_u32_e32 v69, vcc, 0, v49, vcc
	global_load_dwordx4 v[48:51], v[56:57], off offset:1152
	global_load_dwordx4 v[52:55], v[56:57], off offset:3072
	v_mad_u64_u32 v[64:65], s[0:1], s10, v229, 0
	v_mad_u64_u32 v[66:67], s[2:3], s8, v230, 0
	s_mul_i32 s3, s9, 0x780
	s_mul_hi_u32 s4, s8, 0x780
	v_mov_b32_e32 v56, v65
	v_mov_b32_e32 v57, v67
	s_add_i32 s3, s4, s3
	v_mad_u64_u32 v[70:71], s[4:5], s11, v229, v[56:57]
	v_mad_u64_u32 v[71:72], s[4:5], s9, v230, v[57:58]
	global_load_dwordx4 v[56:59], v[68:69], off offset:896
	global_load_dwordx4 v[60:63], v[68:69], off offset:2816
	v_mov_b32_e32 v65, v70
	v_lshlrev_b64 v[64:65], 4, v[64:65]
	v_mov_b32_e32 v67, v71
	v_lshlrev_b64 v[66:67], 4, v[66:67]
	v_add_co_u32_e32 v64, vcc, s6, v64
	v_addc_co_u32_e32 v65, vcc, v73, v65, vcc
	v_add_co_u32_e32 v64, vcc, v64, v66
	v_addc_co_u32_e32 v65, vcc, v65, v67, vcc
	s_mov_b32 s0, 0x8d3018d3
	s_mov_b32 s1, 0x3f48d301
	s_mul_i32 s2, s8, 0x780
	v_mov_b32_e32 v74, s3
	v_add_co_u32_e32 v70, vcc, s2, v64
	v_addc_co_u32_e32 v71, vcc, v65, v74, vcc
	v_mov_b32_e32 v75, s3
	s_waitcnt vmcnt(10) lgkmcnt(4)
	v_mul_f64 v[66:67], v[22:23], v[2:3]
	v_mul_f64 v[2:3], v[20:21], v[2:3]
	s_waitcnt vmcnt(9) lgkmcnt(3)
	v_mul_f64 v[68:69], v[26:27], v[6:7]
	v_mul_f64 v[6:7], v[24:25], v[6:7]
	;; [unrolled: 3-line block ×3, first 2 shown]
	v_fma_f64 v[20:21], v[20:21], v[0:1], v[66:67]
	v_fma_f64 v[2:3], v[0:1], v[22:23], -v[2:3]
	v_fma_f64 v[22:23], v[24:25], v[4:5], v[68:69]
	v_fma_f64 v[6:7], v[4:5], v[26:27], -v[6:7]
	s_waitcnt vmcnt(7) lgkmcnt(1)
	v_mul_f64 v[24:25], v[38:39], v[14:15]
	v_mul_f64 v[14:15], v[36:37], v[14:15]
	v_fma_f64 v[26:27], v[28:29], v[8:9], v[72:73]
	v_fma_f64 v[10:11], v[8:9], v[30:31], -v[10:11]
	v_mul_f64 v[0:1], v[20:21], s[0:1]
	v_mul_f64 v[2:3], v[2:3], s[0:1]
	v_mul_f64 v[4:5], v[22:23], s[0:1]
	v_mul_f64 v[6:7], v[6:7], s[0:1]
	s_waitcnt vmcnt(6) lgkmcnt(0)
	v_mul_f64 v[20:21], v[42:43], v[18:19]
	v_mul_f64 v[18:19], v[40:41], v[18:19]
	v_fma_f64 v[22:23], v[36:37], v[12:13], v[24:25]
	v_mul_f64 v[8:9], v[26:27], s[0:1]
	v_mul_f64 v[10:11], v[10:11], s[0:1]
	v_fma_f64 v[12:13], v[12:13], v[38:39], -v[14:15]
	global_store_dwordx4 v[64:65], v[0:3], off
	global_store_dwordx4 v[70:71], v[4:7], off
	ds_read_b128 v[4:7], v148 offset:9600
	v_add_co_u32_e32 v14, vcc, s2, v70
	v_addc_co_u32_e32 v15, vcc, v71, v75, vcc
	global_store_dwordx4 v[14:15], v[8:11], off
	ds_read_b128 v[8:11], v148 offset:11520
	v_mul_f64 v[0:1], v[22:23], s[0:1]
	v_mul_f64 v[2:3], v[12:13], s[0:1]
	v_fma_f64 v[12:13], v[40:41], v[16:17], v[20:21]
	v_fma_f64 v[16:17], v[16:17], v[42:43], -v[18:19]
	s_waitcnt vmcnt(8) lgkmcnt(1)
	v_mul_f64 v[18:19], v[6:7], v[34:35]
	v_mul_f64 v[20:21], v[4:5], v[34:35]
	v_mov_b32_e32 v22, s3
	v_add_co_u32_e32 v14, vcc, s2, v14
	v_addc_co_u32_e32 v15, vcc, v15, v22, vcc
	global_store_dwordx4 v[14:15], v[0:3], off
	v_fma_f64 v[4:5], v[4:5], v[32:33], v[18:19]
	v_mul_f64 v[0:1], v[12:13], s[0:1]
	v_mul_f64 v[2:3], v[16:17], s[0:1]
	v_fma_f64 v[6:7], v[32:33], v[6:7], -v[20:21]
	s_waitcnt vmcnt(8) lgkmcnt(0)
	v_mul_f64 v[12:13], v[10:11], v[46:47]
	v_mul_f64 v[16:17], v[8:9], v[46:47]
	v_add_co_u32_e32 v14, vcc, s2, v14
	v_addc_co_u32_e32 v15, vcc, v15, v22, vcc
	global_store_dwordx4 v[14:15], v[0:3], off
	v_add_co_u32_e32 v14, vcc, s2, v14
	v_mul_f64 v[0:1], v[4:5], s[0:1]
	v_mul_f64 v[2:3], v[6:7], s[0:1]
	ds_read_b128 v[4:7], v148 offset:13440
	v_fma_f64 v[12:13], v[8:9], v[44:45], v[12:13]
	v_fma_f64 v[16:17], v[44:45], v[10:11], -v[16:17]
	ds_read_b128 v[8:11], v148 offset:15360
	v_addc_co_u32_e32 v15, vcc, v15, v22, vcc
	s_waitcnt vmcnt(8) lgkmcnt(1)
	v_mul_f64 v[18:19], v[6:7], v[50:51]
	v_mul_f64 v[20:21], v[4:5], v[50:51]
	global_store_dwordx4 v[14:15], v[0:3], off
	v_add_co_u32_e32 v14, vcc, s2, v14
	v_mul_f64 v[0:1], v[12:13], s[0:1]
	v_mul_f64 v[2:3], v[16:17], s[0:1]
	s_waitcnt vmcnt(8) lgkmcnt(0)
	v_mul_f64 v[12:13], v[10:11], v[54:55]
	v_fma_f64 v[4:5], v[4:5], v[48:49], v[18:19]
	v_fma_f64 v[6:7], v[48:49], v[6:7], -v[20:21]
	v_mul_f64 v[16:17], v[8:9], v[54:55]
	v_addc_co_u32_e32 v15, vcc, v15, v22, vcc
	v_mov_b32_e32 v18, s3
	global_store_dwordx4 v[14:15], v[0:3], off
	v_fma_f64 v[12:13], v[8:9], v[52:53], v[12:13]
	v_mul_f64 v[0:1], v[4:5], s[0:1]
	v_mul_f64 v[2:3], v[6:7], s[0:1]
	v_fma_f64 v[16:17], v[52:53], v[10:11], -v[16:17]
	ds_read_b128 v[4:7], v148 offset:17280
	ds_read_b128 v[8:11], v148 offset:19200
	v_add_co_u32_e32 v14, vcc, s2, v14
	v_addc_co_u32_e32 v15, vcc, v15, v18, vcc
	s_waitcnt vmcnt(8) lgkmcnt(1)
	v_mul_f64 v[18:19], v[6:7], v[58:59]
	v_mul_f64 v[20:21], v[4:5], v[58:59]
	s_waitcnt vmcnt(7) lgkmcnt(0)
	v_mul_f64 v[22:23], v[10:11], v[62:63]
	v_mul_f64 v[24:25], v[8:9], v[62:63]
	global_store_dwordx4 v[14:15], v[0:3], off
	v_fma_f64 v[4:5], v[4:5], v[56:57], v[18:19]
	v_mul_f64 v[0:1], v[12:13], s[0:1]
	v_mul_f64 v[2:3], v[16:17], s[0:1]
	v_fma_f64 v[6:7], v[56:57], v[6:7], -v[20:21]
	v_fma_f64 v[8:9], v[8:9], v[60:61], v[22:23]
	v_fma_f64 v[10:11], v[60:61], v[10:11], -v[24:25]
	v_mov_b32_e32 v13, s3
	v_add_co_u32_e32 v12, vcc, s2, v14
	v_addc_co_u32_e32 v13, vcc, v15, v13, vcc
	global_store_dwordx4 v[12:13], v[0:3], off
	v_mov_b32_e32 v14, s3
	v_mul_f64 v[0:1], v[4:5], s[0:1]
	v_mul_f64 v[2:3], v[6:7], s[0:1]
	;; [unrolled: 1-line block ×4, first 2 shown]
	v_add_co_u32_e32 v8, vcc, s2, v12
	v_addc_co_u32_e32 v9, vcc, v13, v14, vcc
	global_store_dwordx4 v[8:9], v[0:3], off
	s_nop 0
	v_mov_b32_e32 v1, s3
	v_add_co_u32_e32 v0, vcc, s2, v8
	v_addc_co_u32_e32 v1, vcc, v9, v1, vcc
	global_store_dwordx4 v[0:1], v[4:7], off
.LBB0_31:
	s_endpgm
	.section	.rodata,"a",@progbits
	.p2align	6, 0x0
	.amdhsa_kernel bluestein_single_fwd_len1320_dim1_dp_op_CI_CI
		.amdhsa_group_segment_fixed_size 21120
		.amdhsa_private_segment_fixed_size 284
		.amdhsa_kernarg_size 104
		.amdhsa_user_sgpr_count 6
		.amdhsa_user_sgpr_private_segment_buffer 1
		.amdhsa_user_sgpr_dispatch_ptr 0
		.amdhsa_user_sgpr_queue_ptr 0
		.amdhsa_user_sgpr_kernarg_segment_ptr 1
		.amdhsa_user_sgpr_dispatch_id 0
		.amdhsa_user_sgpr_flat_scratch_init 0
		.amdhsa_user_sgpr_private_segment_size 0
		.amdhsa_uses_dynamic_stack 0
		.amdhsa_system_sgpr_private_segment_wavefront_offset 1
		.amdhsa_system_sgpr_workgroup_id_x 1
		.amdhsa_system_sgpr_workgroup_id_y 0
		.amdhsa_system_sgpr_workgroup_id_z 0
		.amdhsa_system_sgpr_workgroup_info 0
		.amdhsa_system_vgpr_workitem_id 0
		.amdhsa_next_free_vgpr 256
		.amdhsa_next_free_sgpr 48
		.amdhsa_reserve_vcc 1
		.amdhsa_reserve_flat_scratch 0
		.amdhsa_float_round_mode_32 0
		.amdhsa_float_round_mode_16_64 0
		.amdhsa_float_denorm_mode_32 3
		.amdhsa_float_denorm_mode_16_64 3
		.amdhsa_dx10_clamp 1
		.amdhsa_ieee_mode 1
		.amdhsa_fp16_overflow 0
		.amdhsa_exception_fp_ieee_invalid_op 0
		.amdhsa_exception_fp_denorm_src 0
		.amdhsa_exception_fp_ieee_div_zero 0
		.amdhsa_exception_fp_ieee_overflow 0
		.amdhsa_exception_fp_ieee_underflow 0
		.amdhsa_exception_fp_ieee_inexact 0
		.amdhsa_exception_int_div_zero 0
	.end_amdhsa_kernel
	.text
.Lfunc_end0:
	.size	bluestein_single_fwd_len1320_dim1_dp_op_CI_CI, .Lfunc_end0-bluestein_single_fwd_len1320_dim1_dp_op_CI_CI
                                        ; -- End function
	.section	.AMDGPU.csdata,"",@progbits
; Kernel info:
; codeLenInByte = 17692
; NumSgprs: 52
; NumVgprs: 256
; ScratchSize: 284
; MemoryBound: 0
; FloatMode: 240
; IeeeMode: 1
; LDSByteSize: 21120 bytes/workgroup (compile time only)
; SGPRBlocks: 6
; VGPRBlocks: 63
; NumSGPRsForWavesPerEU: 52
; NumVGPRsForWavesPerEU: 256
; Occupancy: 1
; WaveLimiterHint : 1
; COMPUTE_PGM_RSRC2:SCRATCH_EN: 1
; COMPUTE_PGM_RSRC2:USER_SGPR: 6
; COMPUTE_PGM_RSRC2:TRAP_HANDLER: 0
; COMPUTE_PGM_RSRC2:TGID_X_EN: 1
; COMPUTE_PGM_RSRC2:TGID_Y_EN: 0
; COMPUTE_PGM_RSRC2:TGID_Z_EN: 0
; COMPUTE_PGM_RSRC2:TIDIG_COMP_CNT: 0
	.type	__hip_cuid_4448a2bccdf37e5d,@object ; @__hip_cuid_4448a2bccdf37e5d
	.section	.bss,"aw",@nobits
	.globl	__hip_cuid_4448a2bccdf37e5d
__hip_cuid_4448a2bccdf37e5d:
	.byte	0                               ; 0x0
	.size	__hip_cuid_4448a2bccdf37e5d, 1

	.ident	"AMD clang version 19.0.0git (https://github.com/RadeonOpenCompute/llvm-project roc-6.4.0 25133 c7fe45cf4b819c5991fe208aaa96edf142730f1d)"
	.section	".note.GNU-stack","",@progbits
	.addrsig
	.addrsig_sym __hip_cuid_4448a2bccdf37e5d
	.amdgpu_metadata
---
amdhsa.kernels:
  - .args:
      - .actual_access:  read_only
        .address_space:  global
        .offset:         0
        .size:           8
        .value_kind:     global_buffer
      - .actual_access:  read_only
        .address_space:  global
        .offset:         8
        .size:           8
        .value_kind:     global_buffer
      - .actual_access:  read_only
        .address_space:  global
        .offset:         16
        .size:           8
        .value_kind:     global_buffer
      - .actual_access:  read_only
        .address_space:  global
        .offset:         24
        .size:           8
        .value_kind:     global_buffer
      - .actual_access:  read_only
        .address_space:  global
        .offset:         32
        .size:           8
        .value_kind:     global_buffer
      - .offset:         40
        .size:           8
        .value_kind:     by_value
      - .address_space:  global
        .offset:         48
        .size:           8
        .value_kind:     global_buffer
      - .address_space:  global
        .offset:         56
        .size:           8
        .value_kind:     global_buffer
      - .address_space:  global
        .offset:         64
        .size:           8
        .value_kind:     global_buffer
      - .address_space:  global
        .offset:         72
        .size:           8
        .value_kind:     global_buffer
      - .offset:         80
        .size:           4
        .value_kind:     by_value
      - .address_space:  global
        .offset:         88
        .size:           8
        .value_kind:     global_buffer
      - .address_space:  global
        .offset:         96
        .size:           8
        .value_kind:     global_buffer
    .group_segment_fixed_size: 21120
    .kernarg_segment_align: 8
    .kernarg_segment_size: 104
    .language:       OpenCL C
    .language_version:
      - 2
      - 0
    .max_flat_workgroup_size: 165
    .name:           bluestein_single_fwd_len1320_dim1_dp_op_CI_CI
    .private_segment_fixed_size: 284
    .sgpr_count:     52
    .sgpr_spill_count: 0
    .symbol:         bluestein_single_fwd_len1320_dim1_dp_op_CI_CI.kd
    .uniform_work_group_size: 1
    .uses_dynamic_stack: false
    .vgpr_count:     256
    .vgpr_spill_count: 70
    .wavefront_size: 64
amdhsa.target:   amdgcn-amd-amdhsa--gfx906
amdhsa.version:
  - 1
  - 2
...

	.end_amdgpu_metadata
